;; amdgpu-corpus repo=ROCm/aiter kind=harvested arch=n/a opt=n/a

/root/src/amdgpu-assembly/repos/ROCm__aiter/hsa/gfx942/fmha_v3_bwd/bwd_hd192_bf16_a32_rtz_psskddv_group.co:	file format elf64-amdgpu

Disassembly of section .text:

0000000000003e00 <_ZN5aiter41fmha_bwd_hd192_bf16_a32_rtz_psskddv_groupE>:
	s_and_b32 s1, s1, 0xffff                                   // 000000003E00: 8601FF01 0000FFFF
	s_load_dwordx2 s[32:33], s[0:1], 0x0                       // 000000003E08: C0060800 00000000
	s_load_dwordx2 s[36:37], s[0:1], 0x10                      // 000000003E10: C0060900 00000010
	s_load_dwordx2 s[40:41], s[0:1], 0x20                      // 000000003E18: C0060A00 00000020
	s_load_dwordx2 s[8:9], s[0:1], 0x30                        // 000000003E20: C0060200 00000030
	s_load_dwordx2 s[12:13], s[0:1], 0x40                      // 000000003E28: C0060300 00000040
	s_load_dwordx2 s[16:17], s[0:1], 0x50                      // 000000003E30: C0060400 00000050
	s_load_dwordx2 s[20:21], s[0:1], 0x60                      // 000000003E38: C0060500 00000060
	s_load_dwordx2 s[24:25], s[0:1], 0x70                      // 000000003E40: C0060600 00000070
	s_load_dwordx2 s[28:29], s[0:1], 0x80                      // 000000003E48: C0060700 00000080
	s_load_dword s47, s[0:1], 0x90                             // 000000003E50: C0020BC0 00000090
	s_load_dword s48, s[0:1], 0xa0                             // 000000003E58: C0020C00 000000A0
	s_load_dword s74, s[0:1], 0xd0                             // 000000003E60: C0021280 000000D0
	s_load_dword s5, s[0:1], 0xf0                              // 000000003E68: C0020140 000000F0
	s_load_dword s44, s[0:1], 0x100                            // 000000003E70: C0020B00 00000100
	s_load_dword s75, s[0:1], 0x110                            // 000000003E78: C00212C0 00000110
	s_load_dword s6, s[0:1], 0x130                             // 000000003E80: C0020180 00000130
	s_load_dword s52, s[0:1], 0x140                            // 000000003E88: C0020D00 00000140
	s_load_dword s50, s[0:1], 0x160                            // 000000003E90: C0020C80 00000160
	s_load_dword s76, s[0:1], 0x190                            // 000000003E98: C0021300 00000190
	s_load_dword s7, s[0:1], 0x1b0                             // 000000003EA0: C00201C0 000001B0
	s_load_dword s77, s[0:1], 0x1c0                            // 000000003EA8: C0021340 000001C0
	s_load_dword s51, s[0:1], 0x1e0                            // 000000003EB0: C0020CC0 000001E0
	s_load_dword s78, s[0:1], 0x1f0                            // 000000003EB8: C0021380 000001F0
	s_load_dword s79, s[0:1], 0x210                            // 000000003EC0: C00213C0 00000210
	s_load_dword s53, s[0:1], 0x230                            // 000000003EC8: C0020D40 00000230
	s_load_dword s49, s[0:1], 0x240                            // 000000003ED0: C0020C40 00000240
	s_load_dwordx2 s[84:85], s[0:1], 0x250                     // 000000003ED8: C0061500 00000250
	s_load_dwordx2 s[88:89], s[0:1], 0x260                     // 000000003EE0: C0061600 00000260
	s_load_dwordx2 s[92:93], s[0:1], 0x270                     // 000000003EE8: C0061700 00000270
	s_load_dwordx2 s[96:97], s[0:1], 0x280                     // 000000003EF0: C0061800 00000280
	v_lshrrev_b32_e32 v1, 10, v0                               // 000000003EF8: 2002008A
	v_lshrrev_b32_e32 v2, 10, v1                               // 000000003EFC: 2004028A
	v_and_b32_e32 v2, 0x3ff, v2                                // 000000003F00: 260404FF 000003FF
	v_and_b32_e32 v1, 0x3ff, v1                                // 000000003F08: 260202FF 000003FF
	v_and_b32_e32 v0, 0x3ff, v0                                // 000000003F10: 260000FF 000003FF
	v_lshrrev_b32_e32 v3, 6, v0                                // 000000003F18: 20060086
	v_and_b32_e32 v0, 63, v0                                   // 000000003F1C: 260000BF
	s_mov_b32 s2, s2                                           // 000000003F20: BE820002
	s_mov_b32 s3, s3                                           // 000000003F24: BE830003
	s_mov_b32 s4, s4                                           // 000000003F28: BE840004
	v_readfirstlane_b32 s46, v3                                // 000000003F2C: 7E5C0503
	s_waitcnt lgkmcnt(0)                                       // 000000003F30: BF8CC07F
	s_mul_i32 s60, s4, 4                                       // 000000003F34: 923C8404
	s_add_u32 s84, s60, s84                                    // 000000003F38: 8054543C
	s_addc_u32 s85, 0, s85                                     // 000000003F3C: 82555580
	s_load_dwordx2 s[80:81], s[84:85], 0x0                     // 000000003F40: C006142A 00000000
	s_add_u32 s92, s60, s92                                    // 000000003F48: 805C5C3C
	s_addc_u32 s93, 0, s93                                     // 000000003F4C: 825D5D80
	s_load_dword s86, s[92:93], 0x0                            // 000000003F50: C00215AE 00000000
	s_add_u32 s88, s60, s88                                    // 000000003F58: 8058583C
	s_addc_u32 s89, 0, s89                                     // 000000003F5C: 82595980
	s_load_dwordx2 s[82:83], s[88:89], 0x0                     // 000000003F60: C00614AC 00000000
	s_add_u32 s96, s60, s96                                    // 000000003F68: 8060603C
	s_addc_u32 s97, 0, s97                                     // 000000003F6C: 82616180
	s_load_dword s87, s[96:97], 0x0                            // 000000003F70: C00215F0 00000000
	s_mov_b32 s11, 0x20000                                     // 000000003F78: BE8B00FF 00020000
	s_mov_b32 s15, 0x20000                                     // 000000003F80: BE8F00FF 00020000
	s_mov_b32 s19, 0x20000                                     // 000000003F88: BE9300FF 00020000
	s_mov_b32 s23, 0x20000                                     // 000000003F90: BE9700FF 00020000
	s_mov_b32 s27, 0x20000                                     // 000000003F98: BE9B00FF 00020000
	s_mov_b32 s31, 0x20000                                     // 000000003FA0: BE9F00FF 00020000
	s_mov_b32 s35, 0x20000                                     // 000000003FA8: BEA300FF 00020000
	s_mov_b32 s39, 0x20000                                     // 000000003FB0: BEA700FF 00020000
	s_mov_b32 s43, 0x20000                                     // 000000003FB8: BEAB00FF 00020000
	s_and_b32 s9, s9, 0xffff                                   // 000000003FC0: 8609FF09 0000FFFF
	s_and_b32 s13, s13, 0xffff                                 // 000000003FC8: 860DFF0D 0000FFFF
	s_and_b32 s17, s17, 0xffff                                 // 000000003FD0: 8611FF11 0000FFFF
	s_and_b32 s21, s21, 0xffff                                 // 000000003FD8: 8615FF15 0000FFFF
	s_and_b32 s25, s25, 0xffff                                 // 000000003FE0: 8619FF19 0000FFFF
	s_and_b32 s29, s29, 0xffff                                 // 000000003FE8: 861DFF1D 0000FFFF
	s_and_b32 s33, s33, 0xffff                                 // 000000003FF0: 8621FF21 0000FFFF
	s_and_b32 s37, s37, 0xffff                                 // 000000003FF8: 8625FF25 0000FFFF
	s_and_b32 s41, s41, 0xffff                                 // 000000004000: 8629FF29 0000FFFF
	s_or_b32 s9, s9, 0x40000                                   // 000000004008: 8709FF09 00040000
	s_or_b32 s13, s13, 0x40000                                 // 000000004010: 870DFF0D 00040000
	s_or_b32 s17, s17, 0x40000                                 // 000000004018: 8711FF11 00040000
	s_or_b32 s21, s21, 0x40000                                 // 000000004020: 8715FF15 00040000
	s_or_b32 s25, s25, 0x40000                                 // 000000004028: 8719FF19 00040000
	s_or_b32 s29, s29, 0x40000                                 // 000000004030: 871DFF1D 00040000
	s_or_b32 s33, s33, 0x40000                                 // 000000004038: 8721FF21 00040000
	s_or_b32 s37, s37, 0x40000                                 // 000000004040: 8725FF25 00040000
	s_or_b32 s41, s41, 0x40000                                 // 000000004048: 8729FF29 00040000
	s_waitcnt lgkmcnt(0)                                       // 000000004050: BF8CC07F
	s_mul_i32 s61, s2, 64                                      // 000000004054: 923DC002
	s_sub_i32 s83, s83, s82                                    // 000000004058: 81D35253
	s_mov_b32 s82, s87                                         // 00000000405C: BED20057
	s_sub_i32 s81, s81, s80                                    // 000000004060: 81D15051
	s_mov_b32 s80, s86                                         // 000000004064: BED00056
	s_cmp_gt_i32 s81, 0                                        // 000000004068: BF028051
	s_cbranch_scc0 label_126D                                  // 00000000406C: BF8411D1
	s_mov_b32 s58, s81                                         // 000000004070: BEBA0051
	s_mov_b32 s59, 0                                           // 000000004074: BEBB0080
	s_cmp_ge_i32 s61, s83                                      // 000000004078: BF03533D
	s_cbranch_scc1 label_126D                                  // 00000000407C: BF8511CD
	v_accvgpr_write_b32 a143, 0                                // 000000004080: D3D9408F 18000080
	v_mov_b32_e32 v213, 0                                      // 000000004088: 7FAA0280
	s_mov_b32 s71, s3                                          // 00000000408C: BEC70003
	v_cvt_f32_u32_e32 v28, s44                                 // 000000004090: 7E380C2C
	s_sub_i32 s60, 0, s44                                      // 000000004094: 81BC2C80
	v_rcp_iflag_f32_e32 v28, v28                               // 000000004098: 7E38471C
	s_nop 0                                                    // 00000000409C: BF800000
	v_mul_f32_e32 v28, 0x4f7ffffe, v28                         // 0000000040A0: 0A3838FF 4F7FFFFE
	v_cvt_u32_f32_e32 v28, v28                                 // 0000000040A8: 7E380F1C
	v_mul_lo_u32 v29, s60, v28                                 // 0000000040AC: D285001D 0002383C
	v_mul_hi_u32 v29, v28, v29                                 // 0000000040B4: D286001D 00023B1C
	v_add_u32_e32 v28, v28, v29                                // 0000000040BC: 68383B1C
	v_mul_hi_u32 v28, s71, v28                                 // 0000000040C0: D286001C 00023847
	v_mul_lo_u32 v29, v28, s44                                 // 0000000040C8: D285001D 0000591C
	v_sub_u32_e32 v31, s71, v29                                // 0000000040D0: 6A3E3A47
	v_add_u32_e32 v30, 1, v28                                  // 0000000040D4: 683C3881
	v_cmp_le_u32_e32 vcc, s44, v31                             // 0000000040D8: 7D963E2C
	v_subrev_u32_e32 v29, s44, v31                             // 0000000040DC: 6C3A3E2C
	s_nop 0                                                    // 0000000040E0: BF800000
	v_cndmask_b32_e32 v28, v28, v30, vcc                       // 0000000040E4: 00383D1C
	v_cndmask_b32_e32 v31, v31, v29, vcc                       // 0000000040E8: 003E3B1F
	v_add_u32_e32 v29, 1, v28                                  // 0000000040EC: 683A3881
	v_cmp_le_u32_e32 vcc, s44, v31                             // 0000000040F0: 7D963E2C
	s_nop 1                                                    // 0000000040F4: BF800001
	v_cndmask_b32_e32 v31, v28, v29, vcc                       // 0000000040F8: 003E3B1C
	s_nop 3                                                    // 0000000040FC: BF800003
	v_readfirstlane_b32 s45, v31                               // 000000004100: 7E5A051F
	s_nop 3                                                    // 000000004104: BF800003
	s_mov_b32 s84, s8                                          // 000000004108: BED40008
	s_mov_b32 s86, s12                                         // 00000000410C: BED6000C
	s_mov_b32 s88, s16                                         // 000000004110: BED80010
	s_mov_b32 s90, s20                                         // 000000004114: BEDA0014
	s_mov_b32 s85, s9                                          // 000000004118: BED50009
	s_mov_b32 s87, s13                                         // 00000000411C: BED7000D
	s_mov_b32 s89, s17                                         // 000000004120: BED90011
	s_mov_b32 s91, s21                                         // 000000004124: BEDB0015
	v_mov_b32_e32 v28, s47                                     // 000000004128: 7E38022F
	v_mul_f32_e32 v28, s48, v28                                // 00000000412C: 0A383830
	s_mov_b32 s66, 0                                           // 000000004130: BEC20080
	s_mul_i32 s68, 4, s5                                       // 000000004134: 92440584
	s_mul_i32 s101, 4, s51                                     // 000000004138: 92653384
	s_mov_b32 s69, 16                                          // 00000000413C: BEC50090
	s_mov_b32 s63, 0x5040100                                   // 000000004140: BEBF00FF 05040100
	s_mov_b32 s64, 0x7060302                                   // 000000004148: BEC000FF 07060302
	v_readfirstlane_b32 s57, v28                               // 000000004150: 7E72051C
	v_mov_b32_e32 v30, 0x3020706                               // 000000004154: 7E3C02FF 03020706
	v_mov_b32_e32 v28, s63                                     // 00000000415C: 7E38023F
	v_and_b32_e32 v29, 1, v0                                   // 000000004160: 263A0081
	v_cmp_eq_u32_e32 vcc, 1, v29                               // 000000004164: 7D943A81
	s_mul_i32 s60, s50, 64                                     // 000000004168: 923CC032
	s_mov_b32 s67, s60                                         // 00000000416C: BEC3003C
	v_cndmask_b32_e32 v15, v28, v30, vcc                       // 000000004170: 001E3D1C
	v_mov_b32_e32 v159, 0xff800000                             // 000000004174: 7F3E02FF FF800000
	s_mul_i32 s60, s6, 64                                      // 00000000417C: 923CC006
	s_mul_i32 s60, s2, s60                                     // 000000004180: 923C3C02
	s_mul_i32 s61, s45, s75                                    // 000000004184: 923D4B2D
	s_add_u32 s54, s60, s61                                    // 000000004188: 80363D3C
	s_mul_i32 s60, s2, 64                                      // 00000000418C: 923CC002
	s_sub_i32 s60, s83, s60                                    // 000000004190: 81BC3C53
	s_mul_i32 s60, s6, s60                                     // 000000004194: 923C3C06
	s_lshr_b32 s60, s60, 2                                     // 000000004198: 8F3C823C
	s_mov_b32 s14, s60                                         // 00000000419C: BE8E003C
	s_add_u32 s12, s54, s86                                    // 0000000041A0: 800C5636
	s_addc_u32 s13, 0, s87                                     // 0000000041A4: 820D5780
	s_mul_i32 s60, s82, s6                                     // 0000000041A8: 923C0652
	s_mul_hi_u32 s61, s82, s6                                  // 0000000041AC: 963D0652
	s_and_b32 s61, s61, 0xffff                                 // 0000000041B0: 863DFF3D 0000FFFF
	s_add_u32 s12, s12, s60                                    // 0000000041B8: 800C3C0C
	s_addc_u32 s13, s13, s61                                   // 0000000041BC: 820D3D0D
	s_mul_i32 s60, s7, 64                                      // 0000000041C0: 923CC007
	s_mul_i32 s60, s2, s60                                     // 0000000041C4: 923C3C02
	s_mul_i32 s61, s45, s76                                    // 0000000041C8: 923D4C2D
	s_add_u32 s54, s60, s61                                    // 0000000041CC: 80363D3C
	s_mul_i32 s60, s2, 64                                      // 0000000041D0: 923CC002
	s_sub_i32 s60, s83, s60                                    // 0000000041D4: 81BC3C53
	s_mul_i32 s60, s7, s60                                     // 0000000041D8: 923C3C07
	s_lshr_b32 s60, s60, 2                                     // 0000000041DC: 8F3C823C
	s_mov_b32 s18, s60                                         // 0000000041E0: BE92003C
	s_add_u32 s16, s54, s88                                    // 0000000041E4: 80105836
	s_addc_u32 s17, 0, s89                                     // 0000000041E8: 82115980
	s_mul_i32 s60, s82, s7                                     // 0000000041EC: 923C0752
	s_mul_hi_u32 s61, s82, s7                                  // 0000000041F0: 963D0752
	s_and_b32 s61, s61, 0xffff                                 // 0000000041F4: 863DFF3D 0000FFFF
	s_add_u32 s16, s16, s60                                    // 0000000041FC: 80103C10
	s_addc_u32 s17, s17, s61                                   // 000000004200: 82113D11
	s_mul_i32 s61, s3, s74                                     // 000000004204: 923D4A03
	s_mov_b32 s55, s61                                         // 000000004208: BEB7003D
	s_mul_i32 s60, s5, s81                                     // 00000000420C: 923C5105
	s_lshr_b32 s60, s60, 2                                     // 000000004210: 8F3C823C
	s_mov_b32 s10, s60                                         // 000000004214: BE8A003C
	s_add_u32 s8, s55, s84                                     // 000000004218: 80085437
	s_addc_u32 s9, 0, s85                                      // 00000000421C: 82095580
	s_mul_i32 s60, s80, s5                                     // 000000004220: 923C0550
	s_mul_hi_u32 s61, s80, s5                                  // 000000004224: 963D0550
	s_and_b32 s61, s61, 0xffff                                 // 000000004228: 863DFF3D 0000FFFF
	s_add_u32 s8, s8, s60                                      // 000000004230: 80083C08
	s_addc_u32 s9, s9, s61                                     // 000000004234: 82093D09
	s_mul_i32 s61, s3, s77                                     // 000000004238: 923D4D03
	s_mov_b32 s56, s61                                         // 00000000423C: BEB8003D
	s_mul_i32 s60, s51, s81                                    // 000000004240: 923C5133
	s_lshr_b32 s60, s60, 2                                     // 000000004244: 8F3C823C
	s_mov_b32 s22, s60                                         // 000000004248: BE96003C
	s_add_u32 s20, s56, s90                                    // 00000000424C: 80145A38
	s_addc_u32 s21, 0, s91                                     // 000000004250: 82155B80
	s_mul_i32 s60, s80, s51                                    // 000000004254: 923C3350
	s_mul_hi_u32 s61, s80, s51                                 // 000000004258: 963D3350
	s_and_b32 s61, s61, 0xffff                                 // 00000000425C: 863DFF3D 0000FFFF
	s_add_u32 s20, s20, s60                                    // 000000004264: 80143C14
	s_addc_u32 s21, s21, s61                                   // 000000004268: 82153D15
	s_mul_i32 s62, 4, s80                                      // 00000000426C: 923E5084
	s_mul_i32 s61, s3, s49                                     // 000000004270: 923D3103
	s_add_u32 s65, s61, s62                                    // 000000004274: 80413E3D
	s_mul_i32 s60, 4, s81                                      // 000000004278: 923C5184
	s_add_u32 s60, s60, s61                                    // 00000000427C: 803C3D3C
	s_add_u32 s60, s60, s62                                    // 000000004280: 803C3E3C
	s_lshr_b32 s60, s60, 2                                     // 000000004284: 8F3C823C
	s_mov_b32 s26, s60                                         // 000000004288: BE9A003C
	s_mov_b32 s30, s60                                         // 00000000428C: BE9E003C
	s_cmp_lt_u32 s46, 2                                        // 000000004290: BF0A822E
	s_cselect_b32 s24, s24, s28                                // 000000004294: 85181C18
	s_cselect_b32 s25, s25, s29                                // 000000004298: 85191D19
	s_cselect_b32 s26, s26, s30                                // 00000000429C: 851A1E1A
	s_cselect_b32 s27, s27, s31                                // 0000000042A0: 851B1F1B
	s_mov_b32 s71, s6                                          // 0000000042A4: BEC70006
	v_lshrrev_b32_e32 v28, 4, v0                               // 0000000042A8: 20380084
	v_and_b32_e32 v29, 1, v28                                  // 0000000042AC: 263A3881
	v_lshlrev_b32_e32 v29, 1, v29                              // 0000000042B0: 243A3A81
	v_mul_i32_i24_e32 v29, s71, v29                            // 0000000042B4: 0C3A3A47
	v_and_b32_e32 v30, 2, v28                                  // 0000000042B8: 263C3882
	v_lshlrev_b32_e32 v30, 5, v30                              // 0000000042BC: 243C3C85
	v_add_u32_e32 v29, v30, v29                                // 0000000042C0: 683A3B1E
	v_and_b32_e32 v28, 15, v0                                  // 0000000042C4: 2638008F
	v_lshlrev_b32_e32 v28, 2, v28                              // 0000000042C8: 24383882
	v_add_u32_e32 v1, v28, v29                                 // 0000000042CC: 68023B1C
	s_mul_i32 s60, s46, s71                                    // 0000000042D0: 923C472E
	s_mul_i32 s60, s60, 4                                      // 0000000042D4: 923C843C
	v_add_u32_e32 v1, s60, v1                                  // 0000000042D8: 6802023C
	v_add_u32_e32 v2, s71, v1                                  // 0000000042DC: 68040247
	s_mov_b32 s71, s7                                          // 0000000042E0: BEC70007
	v_lshrrev_b32_e32 v28, 4, v0                               // 0000000042E4: 20380084
	v_and_b32_e32 v29, 1, v28                                  // 0000000042E8: 263A3881
	v_lshlrev_b32_e32 v29, 1, v29                              // 0000000042EC: 243A3A81
	v_mul_i32_i24_e32 v29, s71, v29                            // 0000000042F0: 0C3A3A47
	v_and_b32_e32 v30, 2, v28                                  // 0000000042F4: 263C3882
	v_lshlrev_b32_e32 v30, 5, v30                              // 0000000042F8: 243C3C85
	v_add_u32_e32 v29, v30, v29                                // 0000000042FC: 683A3B1E
	v_and_b32_e32 v28, 15, v0                                  // 000000004300: 2638008F
	v_lshlrev_b32_e32 v28, 2, v28                              // 000000004304: 24383882
	v_add_u32_e32 v212, v28, v29                               // 000000004308: 69A83B1C
	s_mul_i32 s60, s46, s71                                    // 00000000430C: 923C472E
	s_mul_i32 s60, s60, 4                                      // 000000004310: 923C843C
	v_add_u32_e32 v212, s60, v212                              // 000000004314: 69A9A83C
	v_add_u32_e32 v213, s71, v212                              // 000000004318: 69ABA847
	v_lshrrev_b32_e32 v1, 2, v1                                // 00000000431C: 20020282
	v_lshrrev_b32_e32 v2, 2, v2                                // 000000004320: 20040482
	v_lshrrev_b32_e32 v212, 2, v212                            // 000000004324: 21A9A882
	v_lshrrev_b32_e32 v213, 2, v213                            // 000000004328: 21ABAA82
	v_and_b32_e32 v9, 15, v0                                   // 00000000432C: 2612008F
	v_lshlrev_b32_e32 v9, 2, v9                                // 000000004330: 24121282
	v_add_u32_e32 v9, s65, v9                                  // 000000004334: 68121241
	v_lshrrev_b32_e32 v9, 2, v9                                // 000000004338: 20121282
	s_mov_b32 s70, s52                                         // 00000000433C: BEC60034
	v_lshrrev_b32_e32 v28, 3, v0                               // 000000004340: 20380083
	v_mul_i32_i24_e32 v3, s70, v28                             // 000000004344: 0C063846
	v_lshrrev_b32_e32 v3, 2, v3                                // 000000004348: 20060682
	v_and_b32_e32 v28, 7, v0                                   // 00000000434C: 26380087
	v_lshlrev_b32_e32 v29, 2, v28                              // 000000004350: 243A3882
	v_add_u32_e32 v3, v29, v3                                  // 000000004354: 6806071D
	s_mul_i32 s60, 16, s70                                     // 000000004358: 923C4690
	s_mul_i32 s60, s46, s60                                    // 00000000435C: 923C3C2E
	v_lshlrev_b32_e32 v3, 2, v3                                // 000000004360: 24060682
	v_add_u32_e32 v3, s60, v3                                  // 000000004364: 6806063C
	s_mul_i32 s60, 8, s70                                      // 000000004368: 923C4688
	v_add_u32_e32 v4, s60, v3                                  // 00000000436C: 6808063C
	s_mul_i32 s60, 64, s52                                     // 000000004370: 923C34C0
	s_mul_i32 s60, s2, s60                                     // 000000004374: 923C3C02
	s_mul_i32 s61, s3, s78                                     // 000000004378: 923D4E03
	s_mul_i32 s62, s82, s52                                    // 00000000437C: 923E3452
	s_add_u32 s60, s60, s61                                    // 000000004380: 803C3D3C
	v_add_u32_e32 v3, s60, v3                                  // 000000004384: 6806063C
	v_lshrrev_b32_e32 v3, 2, v3                                // 000000004388: 20060682
	v_add_u32_e32 v4, s60, v4                                  // 00000000438C: 6808083C
	v_lshrrev_b32_e32 v4, 2, v4                                // 000000004390: 20080882
	s_mul_i32 s60, s83, s52                                    // 000000004394: 923C3453
	s_add_u32 s60, s60, s61                                    // 000000004398: 803C3D3C
	s_lshr_b32 s60, s60, 2                                     // 00000000439C: 8F3C823C
	s_mov_b32 s38, s60                                         // 0000000043A0: BEA6003C
	s_mul_hi_u32 s60, s82, s52                                 // 0000000043A4: 963C3452
	s_and_b32 s60, s60, 0xffff                                 // 0000000043A8: 863CFF3C 0000FFFF
	s_add_u32 s36, s62, s36                                    // 0000000043B0: 8024243E
	s_addc_u32 s37, s60, s37                                   // 0000000043B4: 8225253C
	s_mov_b32 s70, s53                                         // 0000000043B8: BEC60035
	v_lshrrev_b32_e32 v28, 3, v0                               // 0000000043BC: 20380083
	v_mul_i32_i24_e32 v5, s70, v28                             // 0000000043C0: 0C0A3846
	v_lshrrev_b32_e32 v5, 2, v5                                // 0000000043C4: 200A0A82
	v_and_b32_e32 v28, 7, v0                                   // 0000000043C8: 26380087
	v_lshlrev_b32_e32 v29, 2, v28                              // 0000000043CC: 243A3882
	v_add_u32_e32 v5, v29, v5                                  // 0000000043D0: 680A0B1D
	s_mul_i32 s60, 16, s70                                     // 0000000043D4: 923C4690
	s_mul_i32 s60, s46, s60                                    // 0000000043D8: 923C3C2E
	v_lshlrev_b32_e32 v5, 2, v5                                // 0000000043DC: 240A0A82
	v_add_u32_e32 v5, s60, v5                                  // 0000000043E0: 680A0A3C
	s_mul_i32 s60, 8, s70                                      // 0000000043E4: 923C4688
	v_add_u32_e32 v6, s60, v5                                  // 0000000043E8: 680C0A3C
	s_mul_i32 s60, 64, s53                                     // 0000000043EC: 923C35C0
	s_mul_i32 s60, s2, s60                                     // 0000000043F0: 923C3C02
	s_mul_i32 s61, s3, s79                                     // 0000000043F4: 923D4F03
	s_mul_i32 s62, s82, s53                                    // 0000000043F8: 923E3552
	s_add_u32 s60, s60, s61                                    // 0000000043FC: 803C3D3C
	v_add_u32_e32 v5, s60, v5                                  // 000000004400: 680A0A3C
	v_lshrrev_b32_e32 v5, 2, v5                                // 000000004404: 200A0A82
	v_add_u32_e32 v6, s60, v6                                  // 000000004408: 680C0C3C
	v_lshrrev_b32_e32 v6, 2, v6                                // 00000000440C: 200C0C82
	s_mul_i32 s60, s83, s53                                    // 000000004410: 923C3553
	s_add_u32 s60, s60, s61                                    // 000000004414: 803C3D3C
	s_lshr_b32 s60, s60, 2                                     // 000000004418: 8F3C823C
	s_mov_b32 s42, s60                                         // 00000000441C: BEAA003C
	s_mul_hi_u32 s60, s82, s53                                 // 000000004420: 963C3552
	s_and_b32 s60, s60, 0xffff                                 // 000000004424: 863CFF3C 0000FFFF
	s_add_u32 s40, s62, s40                                    // 00000000442C: 8028283E
	s_addc_u32 s41, s60, s41                                   // 000000004430: 8229293C
	v_lshrrev_b32_e32 v28, 5, v0                               // 000000004434: 20380085
	v_mul_i32_i24_e64 v29, s50, 2                              // 000000004438: D106001D 00010432
	v_mul_i32_i24_e32 v7, v29, v28                             // 000000004440: 0C0E391D
	v_and_b32_e32 v28, 31, v0                                  // 000000004444: 2638009F
	v_add_u32_e32 v7, v28, v7                                  // 000000004448: 680E0F1C
	s_mul_i32 s60, 4, s50                                      // 00000000444C: 923C3284
	s_mul_i32 s60, s46, s60                                    // 000000004450: 923C3C2E
	v_add_u32_e32 v7, s60, v7                                  // 000000004454: 680E0E3C
	v_lshlrev_b32_e32 v7, 2, v7                                // 000000004458: 240E0E82
	v_mul_i32_i24_e32 v29, 2, v29                              // 00000000445C: 0C3A3A82
	v_add_u32_e32 v8, v29, v7                                  // 000000004460: 68100F1D
	s_mul_i32 s72, s50, s65                                    // 000000004464: 92484132
	s_mul_hi_u32 s62, s50, s65                                 // 000000004468: 963E4132
	s_and_b32 s62, s62, 0xffff                                 // 00000000446C: 863EFF3E 0000FFFF
	s_add_u32 s32, s72, s32                                    // 000000004474: 80202048
	s_addc_u32 s33, s62, s33                                   // 000000004478: 8221213E
	s_mul_i32 s60, s50, s81                                    // 00000000447C: 923C5132
	s_lshl_b32 s60, s60, 2                                     // 000000004480: 8E3C823C
	s_mov_b32 s34, s60                                         // 000000004484: BEA2003C
	v_mov_b32_e32 v209, 0xffff0000                             // 000000004488: 7FA202FF FFFF0000
	v_mov_b32_e32 v210, 0x7fff0000                             // 000000004490: 7FA402FF 7FFF0000
	v_mov_b32_e32 v211, 0x7fff                                 // 000000004498: 7FA602FF 00007FFF
	s_mul_i32 s60, 64, s2                                      // 0000000044A0: 923C02C0
	s_sub_i32 s81, s83, s60                                    // 0000000044A4: 81D13C53
	s_lshr_b32 s60, s46, 1                                     // 0000000044A8: 8F3C812E
	s_lshl_b32 s60, s60, 8                                     // 0000000044AC: 8E3C883C
	s_add_u32 s76, 0x9f00, s60                                 // 0000000044B0: 804C3CFF 00009F00
	s_add_u32 s77, 0x200, s76                                  // 0000000044B8: 804D4CFF 00000200
	s_mov_b32 m0, s76                                          // 0000000044C0: BEFC004C
	v_lshrrev_b32_e32 v28, 2, v0                               // 0000000044C4: 20380082
	v_and_b32_e32 v29, 3, v28                                  // 0000000044C8: 263A3883
	v_lshrrev_b32_e32 v30, 3, v28                              // 0000000044CC: 203C3883
	v_lshlrev_b32_e32 v30, 2, v30                              // 0000000044D0: 243C3C82
	v_add_u32_e32 v28, v30, v29                                // 0000000044D4: 68383B1E
	v_mov_b32_e32 v30, s50                                     // 0000000044D8: 7E3C0232
	v_mov_b32_e32 v29, 0x80                                    // 0000000044DC: 7E3A02FF 00000080
	v_sub_u32_e32 v30, v30, v29                                // 0000000044E4: 6A3C3B1E
	v_lshrrev_b32_e32 v30, 3, v30                              // 0000000044E8: 203C3C83
	v_cmp_lt_u32_e64 s[78:79], v28, v30                        // 0000000044EC: D0C9004E 00023D1C
	s_mov_b32 s84, -1                                          // 0000000044F4: BED400C1
	s_mov_b32 s85, -1                                          // 0000000044F8: BED500C1
	v_and_b32_e32 v28, 7, v0                                   // 0000000044FC: 26380087
	v_mov_b32_e32 v29, s50                                     // 000000004500: 7E3A0232
	v_mov_b32_e32 v30, 0x80                                    // 000000004504: 7E3C02FF 00000080
	v_sub_u32_e32 v29, v29, v30                                // 00000000450C: 6A3A3D1D
	v_lshrrev_b32_e32 v29, 3, v29                              // 000000004510: 203A3A83
	v_cmp_lt_u32_e64 s[86:87], v28, v29                        // 000000004514: D0C90056 00023B1C
	v_and_b32_e32 v28, 31, v0                                  // 00000000451C: 2638009F
	v_lshrrev_b32_e32 v28, 3, v28                              // 000000004520: 20383883
	v_mov_b32_e32 v29, s50                                     // 000000004524: 7E3A0232
	v_mov_b32_e32 v30, 0x80                                    // 000000004528: 7E3C02FF 00000080
	v_sub_u32_e32 v29, v29, v30                                // 000000004530: 6A3A3D1D
	v_lshrrev_b32_e32 v29, 3, v29                              // 000000004534: 203A3A83
	v_cmp_lt_u32_e64 s[88:89], v28, v29                        // 000000004538: D0C90058 00023B1C
	v_add_u32_e32 v28, 4, v28                                  // 000000004540: 68383884
	v_cmp_lt_u32_e64 s[90:91], v28, v29                        // 000000004544: D0C9005A 00023B1C
	v_and_b32_e32 v28, 31, v0                                  // 00000000454C: 2638009F
	v_lshrrev_b32_e32 v28, 1, v28                              // 000000004550: 20383881
	v_and_b32_e32 v29, 1, v28                                  // 000000004554: 263A3881
	v_lshlrev_b32_e32 v29, 4, v29                              // 000000004558: 243A3A84
	v_and_b32_e32 v30, 2, v28                                  // 00000000455C: 263C3882
	v_lshlrev_b32_e32 v30, 2, v30                              // 000000004560: 243C3C82
	v_add_u32_e32 v29, v30, v29                                // 000000004564: 683A3B1E
	v_and_b32_e32 v30, 12, v28                                 // 000000004568: 263C388C
	v_lshrrev_b32_e32 v30, 1, v30                              // 00000000456C: 203C3C81
	v_add_u32_e32 v29, v30, v29                                // 000000004570: 683A3B1E
	v_lshrrev_b32_e32 v28, 5, v0                               // 000000004574: 20380085
	v_mul_i32_i24_e32 v30, 0x80, v28                           // 000000004578: 0C3C38FF 00000080
	v_add_u32_e32 v29, v30, v29                                // 000000004580: 683A3B1E
	v_and_b32_e32 v30, 1, v0                                   // 000000004584: 263C0081
	v_add_u32_e32 v11, v30, v29                                // 000000004588: 68163B1E
	s_mul_i32 s60, s46, 32                                     // 00000000458C: 923CA02E
	v_add_u32_e32 v11, s60, v11                                // 000000004590: 6816163C
	v_lshlrev_b32_e32 v11, 2, v11                              // 000000004594: 24161682
	v_lshrrev_b32_e32 v28, 4, v0                               // 000000004598: 20380084
	v_and_b32_e32 v29, 1, v28                                  // 00000000459C: 263A3881
	v_lshlrev_b32_e32 v29, 4, v29                              // 0000000045A0: 243A3A84
	v_and_b32_e32 v30, 2, v28                                  // 0000000045A4: 263C3882
	v_mul_i32_i24_e32 v30, 4, v30                              // 0000000045A8: 0C3C3C84
	v_add_u32_e32 v29, v30, v29                                // 0000000045AC: 683A3B1E
	v_and_b32_e32 v28, 15, v0                                  // 0000000045B0: 2638008F
	v_lshrrev_b32_e32 v30, 2, v28                              // 0000000045B4: 203C3882
	v_lshlrev_b32_e32 v30, 5, v30                              // 0000000045B8: 243C3C85
	v_add_u32_e32 v29, v30, v29                                // 0000000045BC: 683A3B1E
	v_and_b32_e32 v28, 3, v0                                   // 0000000045C0: 26380083
	v_and_b32_e32 v30, 1, v28                                  // 0000000045C4: 263C3881
	v_mul_i32_i24_e32 v30, 0x108, v30                          // 0000000045C8: 0C3C3CFF 00000108
	v_add_u32_e32 v29, v30, v29                                // 0000000045D0: 683A3B1E
	v_and_b32_e32 v30, 2, v28                                  // 0000000045D4: 263C3882
	v_lshlrev_b32_e32 v30, 1, v30                              // 0000000045D8: 243C3C81
	v_add_u32_e32 v10, v30, v29                                // 0000000045DC: 68143B1E
	v_lshlrev_b32_e32 v10, 2, v10                              // 0000000045E0: 24141482
	s_mul_i32 s60, s46, 0x1980                                 // 0000000045E4: 923CFF2E 00001980
	v_add_u32_e32 v22, s60, v10                                // 0000000045EC: 682C143C
	v_lshrrev_b32_e32 v28, 5, v0                               // 0000000045F0: 20380085
	v_mul_i32_i24_e32 v13, 0x80, v28                           // 0000000045F4: 0C1A38FF 00000080
	v_and_b32_e32 v28, 31, v0                                  // 0000000045FC: 2638009F
	v_and_b32_e32 v29, 7, v28                                  // 000000004600: 263A3887
	v_and_b32_e32 v30, 1, v29                                  // 000000004604: 263C3A81
	v_lshlrev_b32_e32 v30, 2, v30                              // 000000004608: 243C3C82
	v_add_u32_e32 v13, v30, v13                                // 00000000460C: 681A1B1E
	v_and_b32_e32 v30, 2, v29                                  // 000000004610: 263C3A82
	v_lshlrev_b32_e32 v30, 3, v30                              // 000000004614: 243C3C83
	v_add_u32_e32 v13, v30, v13                                // 000000004618: 681A1B1E
	v_and_b32_e32 v30, 4, v29                                  // 00000000461C: 263C3A84
	v_lshlrev_b32_e32 v30, 1, v30                              // 000000004620: 243C3C81
	v_add_u32_e32 v13, v30, v13                                // 000000004624: 681A1B1E
	v_lshrrev_b32_e32 v29, 3, v28                              // 000000004628: 203A3883
	v_and_b32_e32 v30, 1, v29                                  // 00000000462C: 263C3A81
	v_lshlrev_b32_e32 v30, 1, v30                              // 000000004630: 243C3C81
	v_add_u32_e32 v13, v30, v13                                // 000000004634: 681A1B1E
	v_and_b32_e32 v30, 2, v29                                  // 000000004638: 263C3A82
	v_lshrrev_b32_e32 v30, 1, v30                              // 00000000463C: 203C3C81
	v_add_u32_e32 v13, v30, v13                                // 000000004640: 681A1B1E
	s_mul_i32 s60, s46, 32                                     // 000000004644: 923CA02E
	v_add_u32_e32 v13, s60, v13                                // 000000004648: 681A1A3C
	v_lshlrev_b32_e32 v13, 2, v13                              // 00000000464C: 241A1A82
	v_and_b32_e32 v28, 15, v0                                  // 000000004650: 2638008F
	v_and_b32_e32 v30, 1, v28                                  // 000000004654: 263C3881
	v_mul_i32_i24_e32 v12, 0x108, v30                          // 000000004658: 0C183CFF 00000108
	v_and_b32_e32 v30, 2, v28                                  // 000000004660: 263C3882
	v_lshlrev_b32_e32 v30, 1, v30                              // 000000004664: 243C3C81
	v_add_u32_e32 v12, v30, v12                                // 000000004668: 6818191E
	v_and_b32_e32 v30, 4, v28                                  // 00000000466C: 263C3884
	v_lshlrev_b32_e32 v30, 2, v30                              // 000000004670: 243C3C82
	v_add_u32_e32 v12, v30, v12                                // 000000004674: 6818191E
	v_and_b32_e32 v30, 8, v28                                  // 000000004678: 263C3888
	v_add_u32_e32 v12, v30, v12                                // 00000000467C: 6818191E
	v_lshrrev_b32_e32 v28, 4, v0                               // 000000004680: 20380084
	v_and_b32_e32 v30, 1, v28                                  // 000000004684: 263C3881
	v_lshlrev_b32_e32 v30, 5, v30                              // 000000004688: 243C3C85
	v_add_u32_e32 v12, v30, v12                                // 00000000468C: 6818191E
	v_and_b32_e32 v29, 2, v28                                  // 000000004690: 263A3882
	v_mul_i32_i24_e32 v30, 32, v29                             // 000000004694: 0C3C3AA0
	v_add_u32_e32 v12, v30, v12                                // 000000004698: 6818191E
	v_lshlrev_b32_e32 v12, 2, v12                              // 00000000469C: 24181882
	v_lshrrev_b32_e32 v28, 4, v0                               // 0000000046A0: 20380084
	v_mul_i32_i24_e32 v21, 4, v28                              // 0000000046A4: 0C2A3884
	v_and_b32_e32 v29, 3, v0                                   // 0000000046A8: 263A0083
	v_add_u32_e32 v21, v29, v21                                // 0000000046AC: 682A2B1D
	v_lshlrev_b32_e32 v21, 2, v21                              // 0000000046B0: 242A2A82
	v_lshrrev_b32_e32 v28, 5, v0                               // 0000000046B4: 20380085
	v_mul_i32_i24_e32 v26, 0x104, v28                          // 0000000046B8: 0C3438FF 00000104
	v_and_b32_e32 v28, 31, v0                                  // 0000000046C0: 2638009F
	v_and_b32_e32 v29, 7, v28                                  // 0000000046C4: 263A3887
	v_lshlrev_b32_e32 v30, 2, v29                              // 0000000046C8: 243C3A82
	v_add_u32_e32 v26, v30, v26                                // 0000000046CC: 6834351E
	v_lshrrev_b32_e32 v29, 3, v28                              // 0000000046D0: 203A3883
	v_and_b32_e32 v30, 1, v29                                  // 0000000046D4: 263C3A81
	v_mul_i32_i24_e32 v30, 0x82, v30                           // 0000000046D8: 0C3C3CFF 00000082
	v_add_u32_e32 v26, v30, v26                                // 0000000046E0: 6834351E
	v_and_b32_e32 v30, 2, v29                                  // 0000000046E4: 263C3A82
	v_lshrrev_b32_e32 v30, 1, v30                              // 0000000046E8: 203C3C81
	v_add_u32_e32 v26, v30, v26                                // 0000000046EC: 6834351E
	s_mul_i32 s60, s46, 32                                     // 0000000046F0: 923CA02E
	v_add_u32_e32 v26, s60, v26                                // 0000000046F4: 6834343C
	v_lshlrev_b32_e32 v26, 2, v26                              // 0000000046F8: 24343482
	v_lshrrev_b32_e32 v28, 5, v0                               // 0000000046FC: 20380085
	v_mul_i32_i24_e32 v23, 0x618, v28                          // 000000004700: 0C2E38FF 00000618
	v_and_b32_e32 v28, 31, v0                                  // 000000004708: 2638009F
	v_lshlrev_b32_e32 v28, 1, v28                              // 00000000470C: 24383881
	v_add_u32_e32 v23, v28, v23                                // 000000004710: 682E2F1C
	s_mul_i32 s60, s46, 0x186                                  // 000000004714: 923CFF2E 00000186
	v_add_u32_e32 v23, s60, v23                                // 00000000471C: 682E2E3C
	v_lshlrev_b32_e32 v23, 2, v23                              // 000000004720: 242E2E82
	v_lshrrev_b32_e32 v28, 4, v0                               // 000000004724: 20380084
	v_and_b32_e32 v29, 1, v28                                  // 000000004728: 263A3881
	v_mul_i32_i24_e32 v19, 0x100, v29                          // 00000000472C: 0C263AFF 00000100
	v_and_b32_e32 v29, 2, v28                                  // 000000004734: 263A3882
	v_mul_i32_i24_e32 v29, 64, v29                             // 000000004738: 0C3A3AC0
	v_add_u32_e32 v19, v29, v19                                // 00000000473C: 6826271D
	v_and_b32_e32 v28, 15, v0                                  // 000000004740: 2638008F
	v_mul_i32_i24_e32 v29, 2, v28                              // 000000004744: 0C3A3882
	v_add_u32_e32 v19, v29, v19                                // 000000004748: 6826271D
	s_mul_i32 s60, s46, 32                                     // 00000000474C: 923CA02E
	v_add_u32_e32 v19, s60, v19                                // 000000004750: 6826263C
	v_lshlrev_b32_e32 v19, 2, v19                              // 000000004754: 24262682
	v_lshlrev_b32_e32 v20, 1, v0                               // 000000004758: 24280081
	s_mul_i32 s60, s46, 0x300                                  // 00000000475C: 923CFF2E 00000300
	v_add_u32_e32 v20, s60, v20                                // 000000004764: 6828283C
	v_lshlrev_b32_e32 v20, 2, v20                              // 000000004768: 24282882
	v_lshrrev_b32_e32 v28, 5, v0                               // 00000000476C: 20380085
	v_mul_i32_i24_e32 v17, 64, v28                             // 000000004770: 0C2238C0
	v_and_b32_e32 v28, 31, v0                                  // 000000004774: 2638009F
	v_and_b32_e32 v28, 3, v28                                  // 000000004778: 26383883
	v_and_b32_e32 v29, 1, v28                                  // 00000000477C: 263A3881
	v_mul_i32_i24_e32 v29, 4, v29                              // 000000004780: 0C3A3A84
	v_add_u32_e32 v17, v29, v17                                // 000000004784: 6822231D
	v_and_b32_e32 v29, 2, v28                                  // 000000004788: 263A3882
	v_mul_i32_i24_e32 v29, 0x44, v29                           // 00000000478C: 0C3A3AFF 00000044
	v_add_u32_e32 v17, v29, v17                                // 000000004794: 6822231D
	v_and_b32_e32 v28, 31, v0                                  // 000000004798: 2638009F
	v_lshrrev_b32_e32 v28, 2, v28                              // 00000000479C: 20383882
	v_lshrrev_b32_e32 v30, 2, v28                              // 0000000047A0: 203C3882
	v_mul_i32_i24_e32 v29, 16, v30                             // 0000000047A4: 0C3A3C90
	v_add_u32_e32 v17, v29, v17                                // 0000000047A8: 6822231D
	v_and_b32_e32 v29, 2, v28                                  // 0000000047AC: 263A3882
	v_lshlrev_b32_e32 v29, 4, v29                              // 0000000047B0: 243A3A84
	v_add_u32_e32 v17, v29, v17                                // 0000000047B4: 6822231D
	v_and_b32_e32 v29, 1, v28                                  // 0000000047B8: 263A3881
	v_xor_b32_e32 v29, v30, v29                                // 0000000047BC: 2A3A3B1E
	v_mul_i32_i24_e32 v29, 8, v29                              // 0000000047C0: 0C3A3A88
	v_add_u32_e32 v17, v29, v17                                // 0000000047C4: 6822231D
	v_lshlrev_b32_e32 v17, 2, v17                              // 0000000047C8: 24222282
	v_lshrrev_b32_e32 v28, 5, v0                               // 0000000047CC: 20380085
	v_mul_i32_i24_e32 v18, 32, v28                             // 0000000047D0: 0C2438A0
	v_and_b32_e32 v28, 31, v0                                  // 0000000047D4: 2638009F
	v_and_b32_e32 v28, 3, v28                                  // 0000000047D8: 26383883
	v_and_b32_e32 v29, 1, v28                                  // 0000000047DC: 263A3881
	v_mul_i32_i24_e32 v29, 4, v29                              // 0000000047E0: 0C3A3A84
	v_add_u32_e32 v18, v29, v18                                // 0000000047E4: 6824251D
	v_and_b32_e32 v29, 2, v28                                  // 0000000047E8: 263A3882
	v_lshrrev_b32_e32 v29, 1, v29                              // 0000000047EC: 203A3A81
	v_add_u32_e32 v18, v29, v18                                // 0000000047F0: 6824251D
	v_and_b32_e32 v28, 31, v0                                  // 0000000047F4: 2638009F
	v_lshrrev_b32_e32 v28, 2, v28                              // 0000000047F8: 20383882
	v_and_b32_e32 v30, 1, v28                                  // 0000000047FC: 263C3881
	v_mul_i32_i24_e32 v29, 16, v30                             // 000000004800: 0C3A3C90
	v_add_u32_e32 v18, v29, v18                                // 000000004804: 6824251D
	v_and_b32_e32 v29, 2, v28                                  // 000000004808: 263A3882
	v_add_u32_e32 v18, v29, v18                                // 00000000480C: 6824251D
	v_lshrrev_b32_e32 v29, 2, v28                              // 000000004810: 203A3882
	v_xor_b32_e32 v29, v30, v29                                // 000000004814: 2A3A3B1E
	v_mul_i32_i24_e32 v29, 8, v29                              // 000000004818: 0C3A3A88
	v_add_u32_e32 v18, v29, v18                                // 00000000481C: 6824251D
	s_and_b32 s60, 1, s46                                      // 000000004820: 863C2E81
	s_mul_i32 s60, s60, 64                                     // 000000004824: 923CC03C
	s_lshr_b32 s61, s46, 1                                     // 000000004828: 8F3D812E
	s_mul_i32 s61, s61, 0x120                                  // 00000000482C: 923DFF3D 00000120
	s_add_u32 s60, s60, s61                                    // 000000004834: 803C3D3C
	v_add_u32_e32 v18, s60, v18                                // 000000004838: 6824243C
	v_lshlrev_b32_e32 v18, 2, v18                              // 00000000483C: 24242482
	buffer_load_dword v160, v1, s[12:15], 0 idxen              // 000000004840: E0502000 8003A001
	buffer_load_dword v161, v2, s[12:15], 0 idxen              // 000000004848: E0502000 8003A102
	buffer_load_dword v162, v1, s[12:15], 0 idxen offset:128   // 000000004850: E0502080 8003A201
	buffer_load_dword v163, v2, s[12:15], 0 idxen offset:128   // 000000004858: E0502080 8003A302
	v_mov_b32_e32 v164, 0                                      // 000000004860: 7F480280
	s_mov_b64 exec, s[78:79]                                   // 000000004864: BEFE014E
	buffer_load_dword v164, v1, s[12:15], 0 idxen offset:256   // 000000004868: E0502100 8003A401
	s_mov_b64 exec, s[84:85]                                   // 000000004870: BEFE0154
	v_mov_b32_e32 v165, 0                                      // 000000004874: 7F4A0280
	s_mov_b64 exec, s[78:79]                                   // 000000004878: BEFE014E
	buffer_load_dword v165, v2, s[12:15], 0 idxen offset:256   // 00000000487C: E0502100 8003A502
	s_mov_b64 exec, s[84:85]                                   // 000000004884: BEFE0154
	s_mul_i32 s60, 4, s6                                       // 000000004888: 923C0684
	v_add_u32_e32 v1, s60, v1                                  // 00000000488C: 6802023C
	v_add_u32_e32 v2, s60, v2                                  // 000000004890: 6804043C
	buffer_load_dword v166, v1, s[12:15], 0 idxen              // 000000004894: E0502000 8003A601
	buffer_load_dword v167, v2, s[12:15], 0 idxen              // 00000000489C: E0502000 8003A702
	buffer_load_dword v168, v1, s[12:15], 0 idxen offset:128   // 0000000048A4: E0502080 8003A801
	buffer_load_dword v169, v2, s[12:15], 0 idxen offset:128   // 0000000048AC: E0502080 8003A902
	v_mov_b32_e32 v170, 0                                      // 0000000048B4: 7F540280
	s_mov_b64 exec, s[78:79]                                   // 0000000048B8: BEFE014E
	buffer_load_dword v170, v1, s[12:15], 0 idxen offset:256   // 0000000048BC: E0502100 8003AA01
	s_mov_b64 exec, s[84:85]                                   // 0000000048C4: BEFE0154
	v_mov_b32_e32 v171, 0                                      // 0000000048C8: 7F560280
	s_mov_b64 exec, s[78:79]                                   // 0000000048CC: BEFE014E
	buffer_load_dword v171, v2, s[12:15], 0 idxen offset:256   // 0000000048D0: E0502100 8003AB02
	s_mov_b64 exec, s[84:85]                                   // 0000000048D8: BEFE0154
	s_mul_i32 s60, 4, s6                                       // 0000000048DC: 923C0684
	v_add_u32_e32 v1, s60, v1                                  // 0000000048E0: 6802023C
	v_add_u32_e32 v2, s60, v2                                  // 0000000048E4: 6804043C
	buffer_load_dword v172, v1, s[12:15], 0 idxen              // 0000000048E8: E0502000 8003AC01
	buffer_load_dword v173, v2, s[12:15], 0 idxen              // 0000000048F0: E0502000 8003AD02
	buffer_load_dword v174, v1, s[12:15], 0 idxen offset:128   // 0000000048F8: E0502080 8003AE01
	buffer_load_dword v175, v2, s[12:15], 0 idxen offset:128   // 000000004900: E0502080 8003AF02
	v_mov_b32_e32 v176, 0                                      // 000000004908: 7F600280
	s_mov_b64 exec, s[78:79]                                   // 00000000490C: BEFE014E
	buffer_load_dword v176, v1, s[12:15], 0 idxen offset:256   // 000000004910: E0502100 8003B001
	s_mov_b64 exec, s[84:85]                                   // 000000004918: BEFE0154
	v_mov_b32_e32 v177, 0                                      // 00000000491C: 7F620280
	s_mov_b64 exec, s[78:79]                                   // 000000004920: BEFE014E
	buffer_load_dword v177, v2, s[12:15], 0 idxen offset:256   // 000000004924: E0502100 8003B102
	s_mov_b64 exec, s[84:85]                                   // 00000000492C: BEFE0154
	s_mul_i32 s60, 4, s6                                       // 000000004930: 923C0684
	v_add_u32_e32 v1, s60, v1                                  // 000000004934: 6802023C
	v_add_u32_e32 v2, s60, v2                                  // 000000004938: 6804043C
	buffer_load_dword v178, v1, s[12:15], 0 idxen              // 00000000493C: E0502000 8003B201
	buffer_load_dword v179, v2, s[12:15], 0 idxen              // 000000004944: E0502000 8003B302
	buffer_load_dword v180, v1, s[12:15], 0 idxen offset:128   // 00000000494C: E0502080 8003B401
	buffer_load_dword v181, v2, s[12:15], 0 idxen offset:128   // 000000004954: E0502080 8003B502
	v_mov_b32_e32 v182, 0                                      // 00000000495C: 7F6C0280
	s_mov_b64 exec, s[78:79]                                   // 000000004960: BEFE014E
	buffer_load_dword v182, v1, s[12:15], 0 idxen offset:256   // 000000004964: E0502100 8003B601
	s_mov_b64 exec, s[84:85]                                   // 00000000496C: BEFE0154
	v_mov_b32_e32 v183, 0                                      // 000000004970: 7F6E0280
	s_mov_b64 exec, s[78:79]                                   // 000000004974: BEFE014E
	buffer_load_dword v183, v2, s[12:15], 0 idxen offset:256   // 000000004978: E0502100 8003B702
	s_mov_b64 exec, s[84:85]                                   // 000000004980: BEFE0154
	s_mul_i32 s60, 4, s6                                       // 000000004984: 923C0684
	v_add_u32_e32 v1, s60, v1                                  // 000000004988: 6802023C
	v_add_u32_e32 v2, s60, v2                                  // 00000000498C: 6804043C
	s_waitcnt vmcnt(0) lgkmcnt(0)                              // 000000004990: BF8C0070
	s_barrier                                                  // 000000004994: BF8A0000
	v_perm_b32 v184, v161, v160, s63                           // 000000004998: D1ED00B8 00FF41A1
	v_perm_b32 v185, v161, v160, s64                           // 0000000049A0: D1ED00B9 010341A1
	v_perm_b32 v186, v163, v162, s63                           // 0000000049A8: D1ED00BA 00FF45A3
	v_perm_b32 v187, v163, v162, s64                           // 0000000049B0: D1ED00BB 010345A3
	v_perm_b32 v188, v165, v164, s63                           // 0000000049B8: D1ED00BC 00FF49A5
	v_perm_b32 v189, v165, v164, s64                           // 0000000049C0: D1ED00BD 010349A5
	v_perm_b32 v190, v167, v166, s63                           // 0000000049C8: D1ED00BE 00FF4DA7
	v_perm_b32 v191, v167, v166, s64                           // 0000000049D0: D1ED00BF 01034DA7
	v_perm_b32 v192, v169, v168, s63                           // 0000000049D8: D1ED00C0 00FF51A9
	v_perm_b32 v193, v169, v168, s64                           // 0000000049E0: D1ED00C1 010351A9
	v_perm_b32 v194, v171, v170, s63                           // 0000000049E8: D1ED00C2 00FF55AB
	v_perm_b32 v195, v171, v170, s64                           // 0000000049F0: D1ED00C3 010355AB
	v_perm_b32 v196, v173, v172, s63                           // 0000000049F8: D1ED00C4 00FF59AD
	v_perm_b32 v197, v173, v172, s64                           // 000000004A00: D1ED00C5 010359AD
	v_perm_b32 v198, v175, v174, s63                           // 000000004A08: D1ED00C6 00FF5DAF
	v_perm_b32 v199, v175, v174, s64                           // 000000004A10: D1ED00C7 01035DAF
	v_perm_b32 v200, v177, v176, s63                           // 000000004A18: D1ED00C8 00FF61B1
	v_perm_b32 v201, v177, v176, s64                           // 000000004A20: D1ED00C9 010361B1
	v_perm_b32 v202, v179, v178, s63                           // 000000004A28: D1ED00CA 00FF65B3
	v_perm_b32 v203, v179, v178, s64                           // 000000004A30: D1ED00CB 010365B3
	v_perm_b32 v204, v181, v180, s63                           // 000000004A38: D1ED00CC 00FF69B5
	v_perm_b32 v205, v181, v180, s64                           // 000000004A40: D1ED00CD 010369B5
	v_perm_b32 v206, v183, v182, s63                           // 000000004A48: D1ED00CE 00FF6DB7
	v_perm_b32 v207, v183, v182, s64                           // 000000004A50: D1ED00CF 01036DB7
	ds_write_b32 v26, v184 offset:26112                        // 000000004A58: D81A6600 0000B81A
	ds_write_b32 v26, v185 offset:26120                        // 000000004A60: D81A6608 0000B91A
	ds_write_b32 v26, v186 offset:28192                        // 000000004A68: D81A6E20 0000BA1A
	ds_write_b32 v26, v187 offset:28200                        // 000000004A70: D81A6E28 0000BB1A
	ds_write_b32 v26, v188 offset:30272                        // 000000004A78: D81A7640 0000BC1A
	ds_write_b32 v26, v189 offset:30280                        // 000000004A80: D81A7648 0000BD1A
	ds_write_b32 v26, v190 offset:32352                        // 000000004A88: D81A7E60 0000BE1A
	ds_write_b32 v26, v191 offset:32360                        // 000000004A90: D81A7E68 0000BF1A
	ds_write_b32 v26, v192 offset:34432                        // 000000004A98: D81A8680 0000C01A
	ds_write_b32 v26, v193 offset:34440                        // 000000004AA0: D81A8688 0000C11A
	ds_write_b32 v26, v194 offset:36512                        // 000000004AA8: D81A8EA0 0000C21A
	ds_write_b32 v26, v195 offset:36520                        // 000000004AB0: D81A8EA8 0000C31A
	ds_write_b32 v26, v196 offset:38592                        // 000000004AB8: D81A96C0 0000C41A
	ds_write_b32 v26, v197 offset:38600                        // 000000004AC0: D81A96C8 0000C51A
	ds_write_b32 v26, v198 offset:40672                        // 000000004AC8: D81A9EE0 0000C61A
	ds_write_b32 v26, v199 offset:40680                        // 000000004AD0: D81A9EE8 0000C71A
	ds_write_b32 v26, v200 offset:42752                        // 000000004AD8: D81AA700 0000C81A
	ds_write_b32 v26, v201 offset:42760                        // 000000004AE0: D81AA708 0000C91A
	ds_write_b32 v26, v202 offset:44832                        // 000000004AE8: D81AAF20 0000CA1A
	ds_write_b32 v26, v203 offset:44840                        // 000000004AF0: D81AAF28 0000CB1A
	ds_write_b32 v26, v204 offset:46912                        // 000000004AF8: D81AB740 0000CC1A
	ds_write_b32 v26, v205 offset:46920                        // 000000004B00: D81AB748 0000CD1A
	ds_write_b32 v26, v206 offset:48992                        // 000000004B08: D81ABF60 0000CE1A
	ds_write_b32 v26, v207 offset:49000                        // 000000004B10: D81ABF68 0000CF1A
	ds_write_b32 v11, v160                                     // 000000004B18: D81A0000 0000A00B
	ds_write_b32 v11, v161 offset:1056                         // 000000004B20: D81A0420 0000A10B
	ds_write_b32 v11, v162 offset:2176                         // 000000004B28: D81A0880 0000A20B
	ds_write_b32 v11, v163 offset:3232                         // 000000004B30: D81A0CA0 0000A30B
	ds_write_b32 v11, v164 offset:4352                         // 000000004B38: D81A1100 0000A40B
	ds_write_b32 v11, v165 offset:5408                         // 000000004B40: D81A1520 0000A50B
	ds_write_b32 v11, v166 offset:6528                         // 000000004B48: D81A1980 0000A60B
	ds_write_b32 v11, v167 offset:7584                         // 000000004B50: D81A1DA0 0000A70B
	ds_write_b32 v11, v168 offset:8704                         // 000000004B58: D81A2200 0000A80B
	ds_write_b32 v11, v169 offset:9760                         // 000000004B60: D81A2620 0000A90B
	ds_write_b32 v11, v170 offset:10880                        // 000000004B68: D81A2A80 0000AA0B
	ds_write_b32 v11, v171 offset:11936                        // 000000004B70: D81A2EA0 0000AB0B
	ds_write_b32 v11, v172 offset:13056                        // 000000004B78: D81A3300 0000AC0B
	ds_write_b32 v11, v173 offset:14112                        // 000000004B80: D81A3720 0000AD0B
	ds_write_b32 v11, v174 offset:15232                        // 000000004B88: D81A3B80 0000AE0B
	ds_write_b32 v11, v175 offset:16288                        // 000000004B90: D81A3FA0 0000AF0B
	ds_write_b32 v11, v176 offset:17408                        // 000000004B98: D81A4400 0000B00B
	ds_write_b32 v11, v177 offset:18464                        // 000000004BA0: D81A4820 0000B10B
	ds_write_b32 v11, v178 offset:19584                        // 000000004BA8: D81A4C80 0000B20B
	ds_write_b32 v11, v179 offset:20640                        // 000000004BB0: D81A50A0 0000B30B
	ds_write_b32 v11, v180 offset:21760                        // 000000004BB8: D81A5500 0000B40B
	ds_write_b32 v11, v181 offset:22816                        // 000000004BC0: D81A5920 0000B50B
	ds_write_b32 v11, v182 offset:23936                        // 000000004BC8: D81A5D80 0000B60B
	ds_write_b32 v11, v183 offset:24992                        // 000000004BD0: D81A61A0 0000B70B
	s_waitcnt lgkmcnt(0)                                       // 000000004BD8: BF8CC07F
	s_barrier                                                  // 000000004BDC: BF8A0000
	buffer_load_dword v160, v212, s[16:19], 0 idxen            // 000000004BE0: E0502000 8004A0D4
	buffer_load_dword v161, v213, s[16:19], 0 idxen            // 000000004BE8: E0502000 8004A1D5
	buffer_load_dword v162, v212, s[16:19], 0 idxen offset:128 // 000000004BF0: E0502080 8004A2D4
	buffer_load_dword v163, v213, s[16:19], 0 idxen offset:128 // 000000004BF8: E0502080 8004A3D5
	v_mov_b32_e32 v164, 0                                      // 000000004C00: 7F480280
	s_mov_b64 exec, s[78:79]                                   // 000000004C04: BEFE014E
	buffer_load_dword v164, v212, s[16:19], 0 idxen offset:256 // 000000004C08: E0502100 8004A4D4
	s_mov_b64 exec, s[84:85]                                   // 000000004C10: BEFE0154
	v_mov_b32_e32 v165, 0                                      // 000000004C14: 7F4A0280
	s_mov_b64 exec, s[78:79]                                   // 000000004C18: BEFE014E
	buffer_load_dword v165, v213, s[16:19], 0 idxen offset:256 // 000000004C1C: E0502100 8004A5D5
	s_mov_b64 exec, s[84:85]                                   // 000000004C24: BEFE0154
	s_mul_i32 s60, 4, s7                                       // 000000004C28: 923C0784
	v_add_u32_e32 v212, s60, v212                              // 000000004C2C: 69A9A83C
	v_add_u32_e32 v213, s60, v213                              // 000000004C30: 69ABAA3C
	buffer_load_dword v166, v212, s[16:19], 0 idxen            // 000000004C34: E0502000 8004A6D4
	buffer_load_dword v167, v213, s[16:19], 0 idxen            // 000000004C3C: E0502000 8004A7D5
	buffer_load_dword v168, v212, s[16:19], 0 idxen offset:128 // 000000004C44: E0502080 8004A8D4
	buffer_load_dword v169, v213, s[16:19], 0 idxen offset:128 // 000000004C4C: E0502080 8004A9D5
	v_mov_b32_e32 v170, 0                                      // 000000004C54: 7F540280
	s_mov_b64 exec, s[78:79]                                   // 000000004C58: BEFE014E
	buffer_load_dword v170, v212, s[16:19], 0 idxen offset:256 // 000000004C5C: E0502100 8004AAD4
	s_mov_b64 exec, s[84:85]                                   // 000000004C64: BEFE0154
	v_mov_b32_e32 v171, 0                                      // 000000004C68: 7F560280
	s_mov_b64 exec, s[78:79]                                   // 000000004C6C: BEFE014E
	buffer_load_dword v171, v213, s[16:19], 0 idxen offset:256 // 000000004C70: E0502100 8004ABD5
	s_mov_b64 exec, s[84:85]                                   // 000000004C78: BEFE0154
	s_mul_i32 s60, 4, s7                                       // 000000004C7C: 923C0784
	v_add_u32_e32 v212, s60, v212                              // 000000004C80: 69A9A83C
	v_add_u32_e32 v213, s60, v213                              // 000000004C84: 69ABAA3C
	buffer_load_dword v172, v212, s[16:19], 0 idxen            // 000000004C88: E0502000 8004ACD4
	buffer_load_dword v173, v213, s[16:19], 0 idxen            // 000000004C90: E0502000 8004ADD5
	buffer_load_dword v174, v212, s[16:19], 0 idxen offset:128 // 000000004C98: E0502080 8004AED4
	buffer_load_dword v175, v213, s[16:19], 0 idxen offset:128 // 000000004CA0: E0502080 8004AFD5
	v_mov_b32_e32 v176, 0                                      // 000000004CA8: 7F600280
	s_mov_b64 exec, s[78:79]                                   // 000000004CAC: BEFE014E
	buffer_load_dword v176, v212, s[16:19], 0 idxen offset:256 // 000000004CB0: E0502100 8004B0D4
	s_mov_b64 exec, s[84:85]                                   // 000000004CB8: BEFE0154
	v_mov_b32_e32 v177, 0                                      // 000000004CBC: 7F620280
	s_mov_b64 exec, s[78:79]                                   // 000000004CC0: BEFE014E
	buffer_load_dword v177, v213, s[16:19], 0 idxen offset:256 // 000000004CC4: E0502100 8004B1D5
	s_mov_b64 exec, s[84:85]                                   // 000000004CCC: BEFE0154
	s_mul_i32 s60, 4, s7                                       // 000000004CD0: 923C0784
	v_add_u32_e32 v212, s60, v212                              // 000000004CD4: 69A9A83C
	v_add_u32_e32 v213, s60, v213                              // 000000004CD8: 69ABAA3C
	buffer_load_dword v178, v212, s[16:19], 0 idxen            // 000000004CDC: E0502000 8004B2D4
	buffer_load_dword v179, v213, s[16:19], 0 idxen            // 000000004CE4: E0502000 8004B3D5
	buffer_load_dword v180, v212, s[16:19], 0 idxen offset:128 // 000000004CEC: E0502080 8004B4D4
	buffer_load_dword v181, v213, s[16:19], 0 idxen offset:128 // 000000004CF4: E0502080 8004B5D5
	v_mov_b32_e32 v182, 0                                      // 000000004CFC: 7F6C0280
	s_mov_b64 exec, s[78:79]                                   // 000000004D00: BEFE014E
	buffer_load_dword v182, v212, s[16:19], 0 idxen offset:256 // 000000004D04: E0502100 8004B6D4
	s_mov_b64 exec, s[84:85]                                   // 000000004D0C: BEFE0154
	v_mov_b32_e32 v183, 0                                      // 000000004D10: 7F6E0280
	s_mov_b64 exec, s[78:79]                                   // 000000004D14: BEFE014E
	buffer_load_dword v183, v213, s[16:19], 0 idxen offset:256 // 000000004D18: E0502100 8004B7D5
	s_mov_b64 exec, s[84:85]                                   // 000000004D20: BEFE0154
	s_mul_i32 s60, 4, s7                                       // 000000004D24: 923C0784
	v_add_u32_e32 v212, s60, v212                              // 000000004D28: 69A9A83C
	v_add_u32_e32 v213, s60, v213                              // 000000004D2C: 69ABAA3C
	ds_read_b64 a[24:25], v23 offset:26112                     // 000000004D30: DAEC6600 18000017
	ds_read_b64 a[26:27], v23 offset:26632                     // 000000004D38: DAEC6808 1A000017
	ds_read_b64 a[28:29], v23 offset:27152                     // 000000004D40: DAEC6A10 1C000017
	ds_read_b64 a[30:31], v23 offset:26368                     // 000000004D48: DAEC6700 1E000017
	ds_read_b64 a[32:33], v23 offset:26888                     // 000000004D50: DAEC6908 20000017
	ds_read_b64 a[34:35], v23 offset:27408                     // 000000004D58: DAEC6B10 22000017
	ds_read_b64 a[36:37], v23 offset:38592                     // 000000004D60: DAEC96C0 24000017
	ds_read_b64 a[38:39], v23 offset:39112                     // 000000004D68: DAEC98C8 26000017
	ds_read_b64 a[40:41], v23 offset:39632                     // 000000004D70: DAEC9AD0 28000017
	ds_read_b64 a[42:43], v23 offset:38848                     // 000000004D78: DAEC97C0 2A000017
	ds_read_b64 a[44:45], v23 offset:39368                     // 000000004D80: DAEC99C8 2C000017
	ds_read_b64 a[46:47], v23 offset:39888                     // 000000004D88: DAEC9BD0 2E000017
	ds_read_b128 a[0:3], v22                                   // 000000004D90: DBFE0000 00000016
	ds_read_b128 a[4:7], v22 offset:512                        // 000000004D98: DBFE0200 04000016
	ds_read_b128 a[8:11], v22 offset:2176                      // 000000004DA0: DBFE0880 08000016
	ds_read_b128 a[12:15], v22 offset:2688                     // 000000004DA8: DBFE0A80 0C000016
	ds_read_b128 a[16:19], v22 offset:4352                     // 000000004DB0: DBFE1100 10000016
	ds_read_b128 a[20:23], v22 offset:4864                     // 000000004DB8: DBFE1300 14000016
	s_waitcnt vmcnt(0) lgkmcnt(0)                              // 000000004DC0: BF8C0070
	s_barrier                                                  // 000000004DC4: BF8A0000
	ds_write_b32 v11, v160                                     // 000000004DC8: D81A0000 0000A00B
	ds_write_b32 v11, v161 offset:1056                         // 000000004DD0: D81A0420 0000A10B
	ds_write_b32 v11, v162 offset:2176                         // 000000004DD8: D81A0880 0000A20B
	ds_write_b32 v11, v163 offset:3232                         // 000000004DE0: D81A0CA0 0000A30B
	ds_write_b32 v11, v164 offset:4352                         // 000000004DE8: D81A1100 0000A40B
	ds_write_b32 v11, v165 offset:5408                         // 000000004DF0: D81A1520 0000A50B
	ds_write_b32 v11, v166 offset:6528                         // 000000004DF8: D81A1980 0000A60B
	ds_write_b32 v11, v167 offset:7584                         // 000000004E00: D81A1DA0 0000A70B
	ds_write_b32 v11, v168 offset:8704                         // 000000004E08: D81A2200 0000A80B
	ds_write_b32 v11, v169 offset:9760                         // 000000004E10: D81A2620 0000A90B
	ds_write_b32 v11, v170 offset:10880                        // 000000004E18: D81A2A80 0000AA0B
	ds_write_b32 v11, v171 offset:11936                        // 000000004E20: D81A2EA0 0000AB0B
	ds_write_b32 v11, v172 offset:13056                        // 000000004E28: D81A3300 0000AC0B
	ds_write_b32 v11, v173 offset:14112                        // 000000004E30: D81A3720 0000AD0B
	ds_write_b32 v11, v174 offset:15232                        // 000000004E38: D81A3B80 0000AE0B
	ds_write_b32 v11, v175 offset:16288                        // 000000004E40: D81A3FA0 0000AF0B
	ds_write_b32 v11, v176 offset:17408                        // 000000004E48: D81A4400 0000B00B
	ds_write_b32 v11, v177 offset:18464                        // 000000004E50: D81A4820 0000B10B
	ds_write_b32 v11, v178 offset:19584                        // 000000004E58: D81A4C80 0000B20B
	ds_write_b32 v11, v179 offset:20640                        // 000000004E60: D81A50A0 0000B30B
	ds_write_b32 v11, v180 offset:21760                        // 000000004E68: D81A5500 0000B40B
	ds_write_b32 v11, v181 offset:22816                        // 000000004E70: D81A5920 0000B50B
	ds_write_b32 v11, v182 offset:23936                        // 000000004E78: D81A5D80 0000B60B
	ds_write_b32 v11, v183 offset:24992                        // 000000004E80: D81A61A0 0000B70B
	s_mov_b32 s71, s5                                          // 000000004E88: BEC70005
	v_lshrrev_b32_e32 v28, 4, v0                               // 000000004E8C: 20380084
	v_and_b32_e32 v29, 1, v28                                  // 000000004E90: 263A3881
	v_lshlrev_b32_e32 v29, 1, v29                              // 000000004E94: 243A3A81
	v_mul_i32_i24_e32 v29, s71, v29                            // 000000004E98: 0C3A3A47
	v_and_b32_e32 v30, 2, v28                                  // 000000004E9C: 263C3882
	v_lshlrev_b32_e32 v30, 5, v30                              // 000000004EA0: 243C3C85
	v_add_u32_e32 v29, v30, v29                                // 000000004EA4: 683A3B1E
	v_and_b32_e32 v28, 15, v0                                  // 000000004EA8: 2638008F
	v_lshlrev_b32_e32 v28, 2, v28                              // 000000004EAC: 24383882
	v_add_u32_e32 v1, v28, v29                                 // 000000004EB0: 68023B1C
	s_mul_i32 s60, s46, s71                                    // 000000004EB4: 923C472E
	s_mul_i32 s60, s60, 4                                      // 000000004EB8: 923C843C
	v_add_u32_e32 v1, s60, v1                                  // 000000004EBC: 6802023C
	v_add_u32_e32 v2, s71, v1                                  // 000000004EC0: 68040247
	s_mov_b32 s71, s51                                         // 000000004EC4: BEC70033
	v_lshrrev_b32_e32 v28, 4, v0                               // 000000004EC8: 20380084
	v_and_b32_e32 v29, 1, v28                                  // 000000004ECC: 263A3881
	v_lshlrev_b32_e32 v29, 1, v29                              // 000000004ED0: 243A3A81
	v_mul_i32_i24_e32 v29, s71, v29                            // 000000004ED4: 0C3A3A47
	v_and_b32_e32 v30, 2, v28                                  // 000000004ED8: 263C3882
	v_lshlrev_b32_e32 v30, 5, v30                              // 000000004EDC: 243C3C85
	v_add_u32_e32 v29, v30, v29                                // 000000004EE0: 683A3B1E
	v_and_b32_e32 v28, 15, v0                                  // 000000004EE4: 2638008F
	v_lshlrev_b32_e32 v28, 2, v28                              // 000000004EE8: 24383882
	v_add_u32_e32 v212, v28, v29                               // 000000004EEC: 69A83B1C
	s_mul_i32 s60, s46, s71                                    // 000000004EF0: 923C472E
	s_mul_i32 s60, s60, 4                                      // 000000004EF4: 923C843C
	v_add_u32_e32 v212, s60, v212                              // 000000004EF8: 69A9A83C
	v_add_u32_e32 v213, s71, v212                              // 000000004EFC: 69ABA847
	v_lshrrev_b32_e32 v1, 2, v1                                // 000000004F00: 20020282
	v_lshrrev_b32_e32 v2, 2, v2                                // 000000004F04: 20040482
	v_lshrrev_b32_e32 v212, 2, v212                            // 000000004F08: 21A9A882
	v_lshrrev_b32_e32 v213, 2, v213                            // 000000004F0C: 21ABAA82
	buffer_load_dword v32, v1, s[8:11], 0 idxen                // 000000004F10: E0502000 80022001
	buffer_load_dword v33, v2, s[8:11], 0 idxen                // 000000004F18: E0502000 80022102
	buffer_load_dword v34, v1, s[8:11], 0 idxen offset:128     // 000000004F20: E0502080 80022201
	buffer_load_dword v35, v2, s[8:11], 0 idxen offset:128     // 000000004F28: E0502080 80022302
	v_mov_b32_e32 v36, 0                                       // 000000004F30: 7E480280
	s_mov_b64 exec, s[78:79]                                   // 000000004F34: BEFE014E
	buffer_load_dword v36, v1, s[8:11], 0 idxen offset:256     // 000000004F38: E0502100 80022401
	s_mov_b64 exec, s[84:85]                                   // 000000004F40: BEFE0154
	v_mov_b32_e32 v37, 0                                       // 000000004F44: 7E4A0280
	s_mov_b64 exec, s[78:79]                                   // 000000004F48: BEFE014E
	buffer_load_dword v37, v2, s[8:11], 0 idxen offset:256     // 000000004F4C: E0502100 80022502
	s_mov_b64 exec, s[84:85]                                   // 000000004F54: BEFE0154
	buffer_load_dword v44, v212, s[20:23], 0 idxen             // 000000004F58: E0502000 80052CD4
	buffer_load_dword v45, v213, s[20:23], 0 idxen             // 000000004F60: E0502000 80052DD5
	buffer_load_dword v46, v212, s[20:23], 0 idxen offset:128  // 000000004F68: E0502080 80052ED4
	buffer_load_dword v47, v213, s[20:23], 0 idxen offset:128  // 000000004F70: E0502080 80052FD5
	v_mov_b32_e32 v48, 0                                       // 000000004F78: 7E600280
	s_mov_b64 exec, s[78:79]                                   // 000000004F7C: BEFE014E
	buffer_load_dword v48, v212, s[20:23], 0 idxen offset:256  // 000000004F80: E0502100 800530D4
	s_mov_b64 exec, s[84:85]                                   // 000000004F88: BEFE0154
	v_mov_b32_e32 v49, 0                                       // 000000004F8C: 7E620280
	s_mov_b64 exec, s[78:79]                                   // 000000004F90: BEFE014E
	buffer_load_dword v49, v213, s[20:23], 0 idxen offset:256  // 000000004F94: E0502100 800531D5
	s_mov_b64 exec, s[84:85]                                   // 000000004F9C: BEFE0154
	s_waitcnt lgkmcnt(0)                                       // 000000004FA0: BF8CC07F
	s_barrier                                                  // 000000004FA4: BF8A0000
	ds_read_b128 a[48:51], v22                                 // 000000004FA8: DBFE0000 30000016
	ds_read_b128 a[52:55], v22 offset:512                      // 000000004FB0: DBFE0200 34000016
	ds_read_b128 a[56:59], v22 offset:2176                     // 000000004FB8: DBFE0880 38000016
	ds_read_b128 a[60:63], v22 offset:2688                     // 000000004FC0: DBFE0A80 3C000016
	ds_read_b128 a[64:67], v22 offset:4352                     // 000000004FC8: DBFE1100 40000016
	ds_read_b128 a[68:71], v22 offset:4864                     // 000000004FD0: DBFE1300 44000016
	v_add_u32_e32 v1, s68, v1                                  // 000000004FD8: 68020244
	v_add_u32_e32 v2, s68, v2                                  // 000000004FDC: 68040444
	v_add_u32_e32 v212, s101, v212                             // 000000004FE0: 69A9A865
	v_add_u32_e32 v213, s101, v213                             // 000000004FE4: 69ABAA65
	buffer_load_dword v38, v1, s[8:11], 0 idxen                // 000000004FE8: E0502000 80022601
	buffer_load_dword v39, v2, s[8:11], 0 idxen                // 000000004FF0: E0502000 80022702
	buffer_load_dword v40, v1, s[8:11], 0 idxen offset:128     // 000000004FF8: E0502080 80022801
	buffer_load_dword v41, v2, s[8:11], 0 idxen offset:128     // 000000005000: E0502080 80022902
	v_mov_b32_e32 v42, 0                                       // 000000005008: 7E540280
	s_mov_b64 exec, s[78:79]                                   // 00000000500C: BEFE014E
	buffer_load_dword v42, v1, s[8:11], 0 idxen offset:256     // 000000005010: E0502100 80022A01
	s_mov_b64 exec, s[84:85]                                   // 000000005018: BEFE0154
	v_mov_b32_e32 v43, 0                                       // 00000000501C: 7E560280
	s_mov_b64 exec, s[78:79]                                   // 000000005020: BEFE014E
	buffer_load_dword v43, v2, s[8:11], 0 idxen offset:256     // 000000005024: E0502100 80022B02
	s_mov_b64 exec, s[84:85]                                   // 00000000502C: BEFE0154
	buffer_load_dword v50, v212, s[20:23], 0 idxen             // 000000005030: E0502000 800532D4
	buffer_load_dword v51, v213, s[20:23], 0 idxen             // 000000005038: E0502000 800533D5
	buffer_load_dword v52, v212, s[20:23], 0 idxen offset:128  // 000000005040: E0502080 800534D4
	buffer_load_dword v53, v213, s[20:23], 0 idxen offset:128  // 000000005048: E0502080 800535D5
	v_mov_b32_e32 v54, 0                                       // 000000005050: 7E6C0280
	s_mov_b64 exec, s[78:79]                                   // 000000005054: BEFE014E
	buffer_load_dword v54, v212, s[20:23], 0 idxen offset:256  // 000000005058: E0502100 800536D4
	s_mov_b64 exec, s[84:85]                                   // 000000005060: BEFE0154
	v_mov_b32_e32 v55, 0                                       // 000000005064: 7E6E0280
	s_mov_b64 exec, s[78:79]                                   // 000000005068: BEFE014E
	buffer_load_dword v55, v213, s[20:23], 0 idxen offset:256  // 00000000506C: E0502100 800537D5
	s_mov_b64 exec, s[84:85]                                   // 000000005074: BEFE0154
	v_add_u32_e32 v1, s68, v1                                  // 000000005078: 68020244
	v_add_u32_e32 v2, s68, v2                                  // 00000000507C: 68040444
	v_add_u32_e32 v212, s101, v212                             // 000000005080: 69A9A865
	v_add_u32_e32 v213, s101, v213                             // 000000005084: 69ABAA65
	s_waitcnt vmcnt(12) lgkmcnt(0)                             // 000000005088: BF8C007C
	s_barrier                                                  // 00000000508C: BF8A0000
	buffer_load_dword v9, s[24:27], 0 idxen lds                // 000000005090: E0512000 80060009
	s_mov_b32 m0, s77                                          // 000000005098: BEFC004D
	v_add_u32_e32 v9, s69, v9                                  // 00000000509C: 68121245
	v_perm_b32 v68, v33, v32, s63                              // 0000000050A0: D1ED0044 00FE4121
	v_perm_b32 v69, v33, v32, s64                              // 0000000050A8: D1ED0045 01024121
	v_perm_b32 v70, v35, v34, s63                              // 0000000050B0: D1ED0046 00FE4523
	v_perm_b32 v71, v35, v34, s64                              // 0000000050B8: D1ED0047 01024523
	v_perm_b32 v72, v37, v36, s63                              // 0000000050C0: D1ED0048 00FE4925
	v_perm_b32 v73, v37, v36, s64                              // 0000000050C8: D1ED0049 01024925
	ds_write_b32 v13, v68 offset:6528                          // 0000000050D0: D81A1980 0000440D
	ds_write_b32 v13, v69 offset:7584                          // 0000000050D8: D81A1DA0 0000450D
	ds_write_b32 v13, v70 offset:8704                          // 0000000050E0: D81A2200 0000460D
	ds_write_b32 v13, v71 offset:9760                          // 0000000050E8: D81A2620 0000470D
	ds_write_b32 v13, v72 offset:10880                         // 0000000050F0: D81A2A80 0000480D
	ds_write_b32 v13, v73 offset:11936                         // 0000000050F8: D81A2EA0 0000490D
	ds_write_b32 v11, v32                                      // 000000005100: D81A0000 0000200B
	ds_write_b32 v11, v33 offset:1056                          // 000000005108: D81A0420 0000210B
	ds_write_b32 v11, v34 offset:2176                          // 000000005110: D81A0880 0000220B
	ds_write_b32 v11, v35 offset:3232                          // 000000005118: D81A0CA0 0000230B
	ds_write_b32 v11, v36 offset:4352                          // 000000005120: D81A1100 0000240B
	ds_write_b32 v11, v37 offset:5408                          // 000000005128: D81A1520 0000250B
	buffer_load_dword v9, s[24:27], 0 idxen lds                // 000000005130: E0512000 80060009
	s_mov_b32 m0, s76                                          // 000000005138: BEFC004C
	v_add_u32_e32 v9, s69, v9                                  // 00000000513C: 68121245
	v_perm_b32 v74, v45, v44, s63                              // 000000005140: D1ED004A 00FE592D
	v_perm_b32 v75, v45, v44, s64                              // 000000005148: D1ED004B 0102592D
	v_perm_b32 v76, v47, v46, s63                              // 000000005150: D1ED004C 00FE5D2F
	v_perm_b32 v77, v47, v46, s64                              // 000000005158: D1ED004D 01025D2F
	v_perm_b32 v78, v49, v48, s63                              // 000000005160: D1ED004E 00FE6131
	v_perm_b32 v79, v49, v48, s64                              // 000000005168: D1ED004F 01026131
	ds_write_b32 v13, v74 offset:19584                         // 000000005170: D81A4C80 00004A0D
	ds_write_b32 v13, v75 offset:20640                         // 000000005178: D81A50A0 00004B0D
	ds_write_b32 v13, v76 offset:21760                         // 000000005180: D81A5500 00004C0D
	ds_write_b32 v13, v77 offset:22816                         // 000000005188: D81A5920 00004D0D
	ds_write_b32 v13, v78 offset:23936                         // 000000005190: D81A5D80 00004E0D
	ds_write_b32 v13, v79 offset:24992                         // 000000005198: D81A61A0 00004F0D
	ds_write_b32 v11, v44 offset:13056                         // 0000000051A0: D81A3300 00002C0B
	ds_write_b32 v11, v45 offset:14112                         // 0000000051A8: D81A3720 00002D0B
	ds_write_b32 v11, v46 offset:15232                         // 0000000051B0: D81A3B80 00002E0B
	ds_write_b32 v11, v47 offset:16288                         // 0000000051B8: D81A3FA0 00002F0B
	ds_write_b32 v11, v48 offset:17408                         // 0000000051C0: D81A4400 0000300B
	ds_write_b32 v11, v49 offset:18464                         // 0000000051C8: D81A4820 0000310B
	s_waitcnt vmcnt(1) lgkmcnt(0)                              // 0000000051D0: BF8C0071
	s_barrier                                                  // 0000000051D4: BF8A0000
	ds_read_b128 a[72:75], v10                                 // 0000000051D8: DBFE0000 4800000A
	ds_read_b128 a[76:79], v10 offset:512                      // 0000000051E0: DBFE0200 4C00000A
	ds_read_b128 a[80:83], v10 offset:2176                     // 0000000051E8: DBFE0880 5000000A
	ds_read_b128 a[84:87], v10 offset:2688                     // 0000000051F0: DBFE0A80 5400000A
	ds_read_b128 a[88:91], v10 offset:4352                     // 0000000051F8: DBFE1100 5800000A
	ds_read_b128 a[92:95], v10 offset:4864                     // 000000005200: DBFE1300 5C00000A
	ds_read_b128 v[80:83], v10 offset:13056                    // 000000005208: D9FE3300 5000000A
	ds_read_b128 v[84:87], v10 offset:13568                    // 000000005210: D9FE3500 5400000A
	ds_read_b128 v[88:91], v10 offset:15232                    // 000000005218: D9FE3B80 5800000A
	ds_read_b128 v[92:95], v10 offset:15744                    // 000000005220: D9FE3D80 5C00000A
	ds_read_b128 v[96:99], v10 offset:17408                    // 000000005228: D9FE4400 6000000A
	ds_read_b128 v[100:103], v10 offset:17920                  // 000000005230: D9FE4600 6400000A
	ds_read_b32 v128, v21 offset:40704                         // 000000005238: D86C9F00 80000015
	ds_read_b32 v158, v21 offset:40960                         // 000000005240: D86CA000 9E000015
	v_accvgpr_write_b32 a96, 0                                 // 000000005248: D3D94060 18000080
	v_mov_b32_e32 v160, 0                                      // 000000005250: 7F400280
	v_accvgpr_write_b32 a97, 0                                 // 000000005254: D3D94061 18000080
	v_mov_b32_e32 v161, 0                                      // 00000000525C: 7F420280
	v_accvgpr_write_b32 a98, 0                                 // 000000005260: D3D94062 18000080
	v_mov_b32_e32 v162, 0                                      // 000000005268: 7F440280
	v_accvgpr_write_b32 a99, 0                                 // 00000000526C: D3D94063 18000080
	v_mov_b32_e32 v163, 0                                      // 000000005274: 7F460280
	v_accvgpr_write_b32 a100, 0                                // 000000005278: D3D94064 18000080
	v_mov_b32_e32 v164, 0                                      // 000000005280: 7F480280
	v_accvgpr_write_b32 a101, 0                                // 000000005284: D3D94065 18000080
	v_mov_b32_e32 v165, 0                                      // 00000000528C: 7F4A0280
	v_accvgpr_write_b32 a102, 0                                // 000000005290: D3D94066 18000080
	v_mov_b32_e32 v166, 0                                      // 000000005298: 7F4C0280
	v_accvgpr_write_b32 a103, 0                                // 00000000529C: D3D94067 18000080
	v_mov_b32_e32 v167, 0                                      // 0000000052A4: 7F4E0280
	v_accvgpr_write_b32 a104, 0                                // 0000000052A8: D3D94068 18000080
	v_mov_b32_e32 v168, 0                                      // 0000000052B0: 7F500280
	v_accvgpr_write_b32 a105, 0                                // 0000000052B4: D3D94069 18000080
	v_mov_b32_e32 v169, 0                                      // 0000000052BC: 7F520280
	v_accvgpr_write_b32 a106, 0                                // 0000000052C0: D3D9406A 18000080
	v_mov_b32_e32 v170, 0                                      // 0000000052C8: 7F540280
	v_accvgpr_write_b32 a107, 0                                // 0000000052CC: D3D9406B 18000080
	v_mov_b32_e32 v171, 0                                      // 0000000052D4: 7F560280
	v_accvgpr_write_b32 a108, 0                                // 0000000052D8: D3D9406C 18000080
	v_mov_b32_e32 v172, 0                                      // 0000000052E0: 7F580280
	v_accvgpr_write_b32 a109, 0                                // 0000000052E4: D3D9406D 18000080
	v_mov_b32_e32 v173, 0                                      // 0000000052EC: 7F5A0280
	v_accvgpr_write_b32 a110, 0                                // 0000000052F0: D3D9406E 18000080
	v_mov_b32_e32 v174, 0                                      // 0000000052F8: 7F5C0280
	v_accvgpr_write_b32 a111, 0                                // 0000000052FC: D3D9406F 18000080
	v_mov_b32_e32 v175, 0                                      // 000000005304: 7F5E0280
	v_accvgpr_write_b32 a112, 0                                // 000000005308: D3D94070 18000080
	v_mov_b32_e32 v176, 0                                      // 000000005310: 7F600280
	v_accvgpr_write_b32 a113, 0                                // 000000005314: D3D94071 18000080
	v_mov_b32_e32 v177, 0                                      // 00000000531C: 7F620280
	v_accvgpr_write_b32 a114, 0                                // 000000005320: D3D94072 18000080
	v_mov_b32_e32 v178, 0                                      // 000000005328: 7F640280
	v_accvgpr_write_b32 a115, 0                                // 00000000532C: D3D94073 18000080
	v_mov_b32_e32 v179, 0                                      // 000000005334: 7F660280
	v_accvgpr_write_b32 a116, 0                                // 000000005338: D3D94074 18000080
	v_mov_b32_e32 v180, 0                                      // 000000005340: 7F680280
	v_accvgpr_write_b32 a117, 0                                // 000000005344: D3D94075 18000080
	v_mov_b32_e32 v181, 0                                      // 00000000534C: 7F6A0280
	v_accvgpr_write_b32 a118, 0                                // 000000005350: D3D94076 18000080
	v_mov_b32_e32 v182, 0                                      // 000000005358: 7F6C0280
	v_accvgpr_write_b32 a119, 0                                // 00000000535C: D3D94077 18000080
	v_mov_b32_e32 v183, 0                                      // 000000005364: 7F6E0280
	v_accvgpr_write_b32 a120, 0                                // 000000005368: D3D94078 18000080
	v_mov_b32_e32 v184, 0                                      // 000000005370: 7F700280
	v_accvgpr_write_b32 a121, 0                                // 000000005374: D3D94079 18000080
	v_mov_b32_e32 v185, 0                                      // 00000000537C: 7F720280
	v_accvgpr_write_b32 a122, 0                                // 000000005380: D3D9407A 18000080
	v_mov_b32_e32 v186, 0                                      // 000000005388: 7F740280
	v_accvgpr_write_b32 a123, 0                                // 00000000538C: D3D9407B 18000080
	v_mov_b32_e32 v187, 0                                      // 000000005394: 7F760280
	v_accvgpr_write_b32 a124, 0                                // 000000005398: D3D9407C 18000080
	v_mov_b32_e32 v188, 0                                      // 0000000053A0: 7F780280
	v_accvgpr_write_b32 a125, 0                                // 0000000053A4: D3D9407D 18000080
	v_mov_b32_e32 v189, 0                                      // 0000000053AC: 7F7A0280
	v_accvgpr_write_b32 a126, 0                                // 0000000053B0: D3D9407E 18000080
	v_mov_b32_e32 v190, 0                                      // 0000000053B8: 7F7C0280
	v_accvgpr_write_b32 a127, 0                                // 0000000053BC: D3D9407F 18000080
	v_mov_b32_e32 v191, 0                                      // 0000000053C4: 7F7E0280
	v_accvgpr_write_b32 a128, 0                                // 0000000053C8: D3D94080 18000080
	v_mov_b32_e32 v192, 0                                      // 0000000053D0: 7F800280
	v_accvgpr_write_b32 a129, 0                                // 0000000053D4: D3D94081 18000080
	v_mov_b32_e32 v193, 0                                      // 0000000053DC: 7F820280
	v_accvgpr_write_b32 a130, 0                                // 0000000053E0: D3D94082 18000080
	v_mov_b32_e32 v194, 0                                      // 0000000053E8: 7F840280
	v_accvgpr_write_b32 a131, 0                                // 0000000053EC: D3D94083 18000080
	v_mov_b32_e32 v195, 0                                      // 0000000053F4: 7F860280
	v_accvgpr_write_b32 a132, 0                                // 0000000053F8: D3D94084 18000080
	v_mov_b32_e32 v196, 0                                      // 000000005400: 7F880280
	v_accvgpr_write_b32 a133, 0                                // 000000005404: D3D94085 18000080
	v_mov_b32_e32 v197, 0                                      // 00000000540C: 7F8A0280
	v_accvgpr_write_b32 a134, 0                                // 000000005410: D3D94086 18000080
	v_mov_b32_e32 v198, 0                                      // 000000005418: 7F8C0280
	v_accvgpr_write_b32 a135, 0                                // 00000000541C: D3D94087 18000080
	v_mov_b32_e32 v199, 0                                      // 000000005424: 7F8E0280
	v_accvgpr_write_b32 a136, 0                                // 000000005428: D3D94088 18000080
	v_mov_b32_e32 v200, 0                                      // 000000005430: 7F900280
	v_accvgpr_write_b32 a137, 0                                // 000000005434: D3D94089 18000080
	v_mov_b32_e32 v201, 0                                      // 00000000543C: 7F920280
	v_accvgpr_write_b32 a138, 0                                // 000000005440: D3D9408A 18000080
	v_mov_b32_e32 v202, 0                                      // 000000005448: 7F940280
	v_accvgpr_write_b32 a139, 0                                // 00000000544C: D3D9408B 18000080
	v_mov_b32_e32 v203, 0                                      // 000000005454: 7F960280
	v_accvgpr_write_b32 a140, 0                                // 000000005458: D3D9408C 18000080
	v_mov_b32_e32 v204, 0                                      // 000000005460: 7F980280
	v_accvgpr_write_b32 a141, 0                                // 000000005464: D3D9408D 18000080
	v_mov_b32_e32 v205, 0                                      // 00000000546C: 7F9A0280
	v_accvgpr_write_b32 a142, 0                                // 000000005470: D3D9408E 18000080
	v_mov_b32_e32 v206, 0                                      // 000000005478: 7F9C0280
	v_accvgpr_write_b32 a143, 0                                // 00000000547C: D3D9408F 18000080
	v_mov_b32_e32 v207, 0                                      // 000000005484: 7F9E0280
	v_mov_b32_e32 v144, 0                                      // 000000005488: 7F200280
	v_mov_b32_e32 v145, 0                                      // 00000000548C: 7F220280
	v_mov_b32_e32 v146, 0                                      // 000000005490: 7F240280
	v_mov_b32_e32 v147, 0                                      // 000000005494: 7F260280
	v_mov_b32_e32 v148, 0                                      // 000000005498: 7F280280
	v_mov_b32_e32 v149, 0                                      // 00000000549C: 7F2A0280
	v_mov_b32_e32 v150, 0                                      // 0000000054A0: 7F2C0280
	v_mov_b32_e32 v151, 0                                      // 0000000054A4: 7F2E0280
	v_mov_b32_e32 v152, 0                                      // 0000000054A8: 7F300280
	v_mov_b32_e32 v153, 0                                      // 0000000054AC: 7F320280
	v_mov_b32_e32 v154, 0                                      // 0000000054B0: 7F340280
	v_mov_b32_e32 v155, 0                                      // 0000000054B4: 7F360280
	v_mov_b32_e32 v132, 0                                      // 0000000054B8: 7F080280
	v_mov_b32_e32 v133, 0                                      // 0000000054BC: 7F0A0280
	v_mov_b32_e32 v134, 0                                      // 0000000054C0: 7F0C0280
	v_mov_b32_e32 v135, 0                                      // 0000000054C4: 7F0E0280
	v_mov_b32_e32 v136, 0                                      // 0000000054C8: 7F100280
	v_mov_b32_e32 v137, 0                                      // 0000000054CC: 7F120280
	v_mov_b32_e32 v138, 0                                      // 0000000054D0: 7F140280
	v_mov_b32_e32 v139, 0                                      // 0000000054D4: 7F160280
	v_mov_b32_e32 v140, 0                                      // 0000000054D8: 7F180280
	v_mov_b32_e32 v141, 0                                      // 0000000054DC: 7F1A0280
	v_mov_b32_e32 v142, 0                                      // 0000000054E0: 7F1C0280
	v_mov_b32_e32 v143, 0                                      // 0000000054E4: 7F1E0280
	s_waitcnt lgkmcnt(0)                                       // 0000000054E8: BF8CC07F
	s_barrier                                                  // 0000000054EC: BF8A0000
	buffer_load_dword v32, v1, s[8:11], 0 idxen                // 0000000054F0: E0502000 80022001
	buffer_load_dword v33, v2, s[8:11], 0 idxen                // 0000000054F8: E0502000 80022102
	buffer_load_dword v34, v1, s[8:11], 0 idxen offset:128     // 000000005500: E0502080 80022201
	buffer_load_dword v35, v2, s[8:11], 0 idxen offset:128     // 000000005508: E0502080 80022302
	v_mov_b32_e32 v36, 0                                       // 000000005510: 7E480280
	s_mov_b64 exec, s[78:79]                                   // 000000005514: BEFE014E
	buffer_load_dword v36, v1, s[8:11], 0 idxen offset:256     // 000000005518: E0502100 80022401
	s_mov_b64 exec, s[84:85]                                   // 000000005520: BEFE0154
	v_mov_b32_e32 v37, 0                                       // 000000005524: 7E4A0280
	s_mov_b64 exec, s[78:79]                                   // 000000005528: BEFE014E
	buffer_load_dword v37, v2, s[8:11], 0 idxen offset:256     // 00000000552C: E0502100 80022502
	s_mov_b64 exec, s[84:85]                                   // 000000005534: BEFE0154
	buffer_load_dword v44, v212, s[20:23], 0 idxen             // 000000005538: E0502000 80052CD4
	buffer_load_dword v45, v213, s[20:23], 0 idxen             // 000000005540: E0502000 80052DD5
	buffer_load_dword v46, v212, s[20:23], 0 idxen offset:128  // 000000005548: E0502080 80052ED4
	buffer_load_dword v47, v213, s[20:23], 0 idxen offset:128  // 000000005550: E0502080 80052FD5
	v_mov_b32_e32 v48, 0                                       // 000000005558: 7E600280
	s_mov_b64 exec, s[78:79]                                   // 00000000555C: BEFE014E
	buffer_load_dword v48, v212, s[20:23], 0 idxen offset:256  // 000000005560: E0502100 800530D4
	s_mov_b64 exec, s[84:85]                                   // 000000005568: BEFE0154
	v_mov_b32_e32 v49, 0                                       // 00000000556C: 7E620280
	s_mov_b64 exec, s[78:79]                                   // 000000005570: BEFE014E
	buffer_load_dword v49, v213, s[20:23], 0 idxen offset:256  // 000000005574: E0502100 800531D5
	s_mov_b64 exec, s[84:85]                                   // 00000000557C: BEFE0154
	buffer_load_dword v9, s[24:27], 0 idxen lds                // 000000005580: E0512000 80060009
	s_mov_b32 m0, s77                                          // 000000005588: BEFC004D
	v_add_u32_e32 v9, s69, v9                                  // 00000000558C: 68121245
	v_add_u32_e32 v1, s68, v1                                  // 000000005590: 68020244
	v_add_u32_e32 v2, s68, v2                                  // 000000005594: 68040444
	v_add_u32_e32 v212, s101, v212                             // 000000005598: 69A9A865
	v_add_u32_e32 v213, s101, v213                             // 00000000559C: 69ABAA65
	v_mul_f32_e32 v128, s48, v128                              // 0000000055A0: 0B010030
	v_perm_b32 v68, v39, v38, s63                              // 0000000055A4: D1ED0044 00FE4D27
	v_perm_b32 v69, v39, v38, s64                              // 0000000055AC: D1ED0045 01024D27
	v_perm_b32 v70, v41, v40, s63                              // 0000000055B4: D1ED0046 00FE5129
	v_perm_b32 v71, v41, v40, s64                              // 0000000055BC: D1ED0047 01025129
	v_perm_b32 v72, v43, v42, s63                              // 0000000055C4: D1ED0048 00FE552B
	v_perm_b32 v73, v43, v42, s64                              // 0000000055CC: D1ED0049 0102552B
	v_perm_b32 v74, v51, v50, s63                              // 0000000055D4: D1ED004A 00FE6533
	v_perm_b32 v75, v51, v50, s64                              // 0000000055DC: D1ED004B 01026533
	v_perm_b32 v76, v53, v52, s63                              // 0000000055E4: D1ED004C 00FE6935
	v_perm_b32 v77, v53, v52, s64                              // 0000000055EC: D1ED004D 01026935
	v_perm_b32 v78, v55, v54, s63                              // 0000000055F4: D1ED004E 00FE6D37
	v_perm_b32 v79, v55, v54, s64                              // 0000000055FC: D1ED004F 01026D37
	v_mov_b32_dpp v131, v128 quad_perm:[3,3,3,3] row_mask:0xf bank_mask:0xf// 000000005604: 7F0602FA FF00FF80
	v_mov_b32_dpp v130, v128 quad_perm:[2,2,2,2] row_mask:0xf bank_mask:0xf// 00000000560C: 7F0402FA FF00AA80
	v_mov_b32_dpp v129, v128 quad_perm:[1,1,1,1] row_mask:0xf bank_mask:0xf// 000000005614: 7F0202FA FF005580
	v_mov_b32_dpp v128, v128 quad_perm:[0,0,0,0] row_mask:0xf bank_mask:0xf// 00000000561C: 7F0002FA FF000080
	s_waitcnt vmcnt(13)                                        // 000000005624: BF8C0F7D
	s_barrier                                                  // 000000005628: BF8A0000
	s_cmp_lt_i32 s46, 2                                        // 00000000562C: BF04822E
	s_cbranch_scc0 label_099F                                  // 000000005630: BF840392
	s_nop 0                                                    // 000000005634: BF800000
	s_nop 0                                                    // 000000005638: BF800000

000000000000563c <label_060F>:
	s_waitcnt lgkmcnt(0)                                       // 00000000563C: BF8CC07F
	s_barrier                                                  // 000000005640: BF8A0000
	v_mfma_f32_16x16x16_bf16 v[56:59], a[72:73], a[0:1], 0     // 000000005644: D3E10038 1A020148
	ds_write_b32 v11, v50 offset:13056                         // 00000000564C: D81A3300 0000320B
	ds_write_b32 v11, v51 offset:14112                         // 000000005654: D81A3720 0000330B
	ds_write_b32 v11, v52 offset:15232                         // 00000000565C: D81A3B80 0000340B
	v_mfma_f32_16x16x16_bf16 v[56:59], a[74:75], a[2:3], v[56:59]// 000000005664: D3E10038 1CE2054A
	v_mul_f32_e32 v132, s47, v132                              // 00000000566C: 0B09082F
	v_mul_f32_e32 v133, s47, v133                              // 000000005670: 0B0B0A2F
	v_mul_f32_e32 v134, s47, v134                              // 000000005674: 0B0D0C2F
	v_mul_f32_e32 v135, s47, v135                              // 000000005678: 0B0F0E2F
	v_mfma_f32_16x16x16_bf16 v[56:59], a[76:77], a[4:5], v[56:59]// 00000000567C: D3E10038 1CE2094C
	ds_write_b32 v11, v53 offset:16288                         // 000000005684: D81A3FA0 0000350B
	ds_write_b32 v11, v54 offset:17408                         // 00000000568C: D81A4400 0000360B
	ds_write_b32 v11, v55 offset:18464                         // 000000005694: D81A4820 0000370B
	v_mfma_f32_16x16x16_bf16 v[56:59], a[78:79], a[6:7], v[56:59]// 00000000569C: D3E10038 1CE20D4E
	v_mul_f32_e32 v136, s47, v136                              // 0000000056A4: 0B11102F
	v_mul_f32_e32 v137, s47, v137                              // 0000000056A8: 0B13122F
	v_mul_f32_e32 v138, s47, v138                              // 0000000056AC: 0B15142F
	v_mul_f32_e32 v139, s47, v139                              // 0000000056B0: 0B17162F
	v_mfma_f32_16x16x16_bf16 v[56:59], a[80:81], a[8:9], v[56:59]// 0000000056B4: D3E10038 1CE21150
	ds_write_b64 v20, v[132:133] offset:28416                  // 0000000056BC: D89A6F00 00008414
	ds_write_b64 v20, v[134:135] offset:28928                  // 0000000056C4: D89A7100 00008614
	v_mfma_f32_16x16x16_bf16 v[56:59], a[82:83], a[10:11], v[56:59]// 0000000056CC: D3E10038 1CE21552
	v_mul_f32_e32 v140, s47, v140                              // 0000000056D4: 0B19182F
	v_mul_f32_e32 v141, s47, v141                              // 0000000056D8: 0B1B1A2F
	v_mul_f32_e32 v142, s47, v142                              // 0000000056DC: 0B1D1C2F
	v_mul_f32_e32 v143, s47, v143                              // 0000000056E0: 0B1F1E2F
	v_mfma_f32_16x16x16_bf16 v[56:59], a[84:85], a[12:13], v[56:59]// 0000000056E4: D3E10038 1CE21954
	ds_write_b64 v20, v[136:137] offset:29440                  // 0000000056EC: D89A7300 00008814
	ds_write_b64 v20, v[138:139] offset:29952                  // 0000000056F4: D89A7500 00008A14
	v_mfma_f32_16x16x16_bf16 v[56:59], a[86:87], a[14:15], v[56:59]// 0000000056FC: D3E10038 1CE21D56
	ds_write_b64 v20, v[140:141] offset:30464                  // 000000005704: D89A7700 00008C14
	ds_write_b64 v20, v[142:143] offset:30976                  // 00000000570C: D89A7900 00008E14
	v_mfma_f32_16x16x16_bf16 v[56:59], a[88:89], a[16:17], v[56:59]// 000000005714: D3E10038 1CE22158
	ds_read_b128 v[104:107], v12 offset:19584                  // 00000000571C: D9FE4C80 6800000C
	v_mfma_f32_16x16x16_bf16 v[56:59], a[90:91], a[18:19], v[56:59]// 000000005724: D3E10038 1CE2255A
	ds_read_b128 v[108:111], v12 offset:20096                  // 00000000572C: D9FE4E80 6C00000C
	v_mfma_f32_16x16x16_bf16 v[56:59], a[92:93], a[20:21], v[56:59]// 000000005734: D3E10038 1CE2295C
	ds_read_b128 v[112:115], v12 offset:21760                  // 00000000573C: D9FE5500 7000000C
	ds_read_b128 v[116:119], v12 offset:22272                  // 000000005744: D9FE5700 7400000C
	v_mfma_f32_16x16x16_bf16 v[56:59], a[94:95], a[22:23], v[56:59]// 00000000574C: D3E10038 1CE22D5E
	ds_read_b128 v[120:123], v12 offset:23936                  // 000000005754: D9FE5D80 7800000C
	ds_read_b128 v[124:127], v12 offset:24448                  // 00000000575C: D9FE5F80 7C00000C
	s_cmp_lt_i32 s81, 64                                       // 000000005764: BF04C051
	s_cbranch_scc0 label_066A                                  // 000000005768: BF84000F
	v_and_b32_e32 v28, 15, v0                                  // 00000000576C: 2638008F
	v_mul_i32_i24_e64 v29, s46, 16                             // 000000005770: D106001D 0001202E
	v_add_u32_e32 v28, v28, v29                                // 000000005778: 68383B1C
	v_cmp_lt_u32_e64 s[60:61], v28, s81                        // 00000000577C: D0C9003C 0000A31C
	s_nop 1                                                    // 000000005784: BF800001
	v_cndmask_b32_e64 v56, v159, v56, s[60:61]                 // 000000005788: D1000038 00F2719F
	v_cndmask_b32_e64 v57, v159, v57, s[60:61]                 // 000000005790: D1000039 00F2739F
	v_cndmask_b32_e64 v58, v159, v58, s[60:61]                 // 000000005798: D100003A 00F2759F
	v_cndmask_b32_e64 v59, v159, v59, s[60:61]                 // 0000000057A0: D100003B 00F2779F

00000000000057a8 <label_066A>:
	s_waitcnt lgkmcnt(6)                                       // 0000000057A8: BF8CC67F
	s_barrier                                                  // 0000000057AC: BF8A0000
	v_mfma_f32_16x16x16_bf16 v[64:67], v[80:81], a[48:49], 0   // 0000000057B0: D3E10040 12026150
	ds_read_b128 a[72:75], v12 offset:6528                     // 0000000057B8: DBFE1980 4800000C
	ds_read_b128 a[76:79], v12 offset:7040                     // 0000000057C0: DBFE1B80 4C00000C
	ds_write_b32 v11, v38                                      // 0000000057C8: D81A0000 0000260B
	ds_write_b32 v11, v39 offset:1056                          // 0000000057D0: D81A0420 0000270B
	v_mfma_f32_16x16x16_bf16 v[64:67], v[82:83], a[50:51], v[64:67]// 0000000057D8: D3E10040 15026552
	v_fma_f32 v56, v56, s57, -v128                             // 0000000057E0: D1CB0038 86007338
	v_fma_f32 v57, v57, s57, -v129                             // 0000000057E8: D1CB0039 86047339
	v_fma_f32 v58, v58, s57, -v130                             // 0000000057F0: D1CB003A 8608733A
	v_fma_f32 v59, v59, s57, -v131                             // 0000000057F8: D1CB003B 860C733B
	v_mfma_f32_16x16x16_bf16 v[64:67], v[84:85], a[52:53], v[64:67]// 000000005800: D3E10040 15026954
	ds_read_b128 a[80:83], v12 offset:8704                     // 000000005808: DBFE2200 5000000C
	ds_read_b128 a[84:87], v12 offset:9216                     // 000000005810: DBFE2400 5400000C
	ds_write_b32 v11, v40 offset:2176                          // 000000005818: D81A0880 0000280B
	v_mfma_f32_16x16x16_bf16 v[64:67], v[86:87], a[54:55], v[64:67]// 000000005820: D3E10040 15026D56
	v_exp_f32_e32 v56, v56                                     // 000000005828: 7E704138
	v_mfma_f32_16x16x16_bf16 v[64:67], v[88:89], a[56:57], v[64:67]// 00000000582C: D3E10040 15027158
	ds_read_b128 a[88:91], v12 offset:10880                    // 000000005834: DBFE2A80 5800000C
	ds_read_b128 a[92:95], v12 offset:11392                    // 00000000583C: DBFE2C80 5C00000C
	ds_write_b32 v11, v41 offset:3232                          // 000000005844: D81A0CA0 0000290B
	v_mfma_f32_16x16x16_bf16 v[64:67], v[90:91], a[58:59], v[64:67]// 00000000584C: D3E10040 1502755A
	v_exp_f32_e32 v57, v57                                     // 000000005854: 7E724139
	v_mfma_f32_16x16x16_bf16 v[64:67], v[92:93], a[60:61], v[64:67]// 000000005858: D3E10040 1502795C
	ds_read_b64 v[144:145], v19 offset:28416                   // 000000005860: D8EC6F00 90000013
	ds_read_b64 v[146:147], v19 offset:30464                   // 000000005868: D8EC7700 92000013
	ds_read_b64 v[148:149], v19 offset:32512                   // 000000005870: D8EC7F00 94000013
	ds_write_b32 v11, v42 offset:4352                          // 000000005878: D81A1100 00002A0B
	v_mfma_f32_16x16x16_bf16 v[64:67], v[94:95], a[62:63], v[64:67]// 000000005880: D3E10040 15027D5E
	v_exp_f32_e32 v58, v58                                     // 000000005888: 7E74413A
	v_mfma_f32_16x16x16_bf16 v[64:67], v[96:97], a[64:65], v[64:67]// 00000000588C: D3E10040 15028160
	ds_read_b64 v[150:151], v19 offset:34560                   // 000000005894: D8EC8700 96000013
	ds_read_b64 v[152:153], v19 offset:36608                   // 00000000589C: D8EC8F00 98000013
	ds_read_b64 v[154:155], v19 offset:38656                   // 0000000058A4: D8EC9700 9A000013
	ds_write_b32 v11, v43 offset:5408                          // 0000000058AC: D81A1520 00002B0B
	v_mfma_f32_16x16x16_bf16 v[64:67], v[98:99], a[66:67], v[64:67]// 0000000058B4: D3E10040 15028562
	v_exp_f32_e32 v59, v59                                     // 0000000058BC: 7E76413B
	v_mfma_f32_16x16x16_bf16 v[64:67], v[100:101], a[68:69], v[64:67]// 0000000058C0: D3E10040 15028964
	v_perm_b32 v156, v57, v56, s64                             // 0000000058C8: D1ED009C 01027139
	v_mfma_f32_16x16x16_bf16 v[64:67], v[102:103], a[70:71], v[64:67]// 0000000058D0: D3E10040 15028D66
	v_perm_b32 v157, v59, v58, s64                             // 0000000058D8: D1ED009D 0102753B
	v_add_u32_e32 v7, s66, v7                                  // 0000000058E0: 680E0E42
	v_add_u32_e32 v8, s66, v8                                  // 0000000058E4: 68101042
	s_waitcnt lgkmcnt(0)                                       // 0000000058E8: BF8CC07F
	s_barrier                                                  // 0000000058EC: BF8A0000
	v_mfma_f32_16x16x16_bf16 v[160:163], v[104:105], v[156:157], v[160:163]// 0000000058F0: D3E100A0 06833968
	v_subrev_f32_dpp v64, v158, v64 quad_perm:[0,0,0,0] row_mask:0xf bank_mask:0xf// 0000000058F8: 068080FA FF00009E
	v_subrev_f32_dpp v65, v158, v65 quad_perm:[1,1,1,1] row_mask:0xf bank_mask:0xf// 000000005900: 068282FA FF00559E
	buffer_atomic_add_f32 v144, v7, s[32:35], 0 offen          // 000000005908: E1341000 80089007
	v_mfma_f32_16x16x16_bf16 v[164:167], v[106:107], v[156:157], v[164:167]// 000000005910: D3E100A4 0693396A
	v_subrev_f32_dpp v66, v158, v66 quad_perm:[2,2,2,2] row_mask:0xf bank_mask:0xf// 000000005918: 068484FA FF00AA9E
	v_subrev_f32_dpp v67, v158, v67 quad_perm:[3,3,3,3] row_mask:0xf bank_mask:0xf// 000000005920: 068686FA FF00FF9E
	buffer_atomic_add_f32 v145, v8, s[32:35], 0 offen          // 000000005928: E1341000 80089108
	v_mfma_f32_16x16x16_bf16 v[168:171], v[108:109], v[156:157], v[168:171]// 000000005930: D3E100A8 06A3396C
	v_mul_f32_e32 v64, v56, v64                                // 000000005938: 0A808138
	v_mul_f32_e32 v65, v57, v65                                // 00000000593C: 0A828339
	buffer_atomic_add_f32 v146, v7, s[32:35], 0 offen offset:128// 000000005940: E1341080 80089207
	v_mfma_f32_16x16x16_bf16 v[172:175], v[110:111], v[156:157], v[172:175]// 000000005948: D3E100AC 06B3396E
	v_mul_f32_e32 v66, v58, v66                                // 000000005950: 0A84853A
	v_mul_f32_e32 v67, v59, v67                                // 000000005954: 0A86873B
	buffer_atomic_add_f32 v147, v8, s[32:35], 0 offen offset:128// 000000005958: E1341080 80089308
	v_mfma_f32_16x16x16_bf16 v[176:179], v[112:113], v[156:157], v[176:179]// 000000005960: D3E100B0 06C33970
	v_perm_b32 v64, v65, v64, s64                              // 000000005968: D1ED0040 01028141
	v_mfma_f32_16x16x16_bf16 v[180:183], v[114:115], v[156:157], v[180:183]// 000000005970: D3E100B4 06D33972
	v_perm_b32 v65, v67, v66, s64                              // 000000005978: D1ED0041 01028543
	v_mfma_f32_16x16x16_bf16 v[184:187], v[116:117], v[156:157], v[184:187]// 000000005980: D3E100B8 06E33974
	v_mov_b32_dpp v16, v64 quad_perm:[1,0,3,2] row_mask:0xf bank_mask:0xf// 000000005988: 7E2002FA FF00B140
	v_perm_b32 v56, v16, v64, v15                              // 000000005990: D1ED0038 043E8110
	buffer_atomic_add_f32 v148, v7, s[32:35], 0 offen offset:256// 000000005998: E1341100 80089407
	v_mfma_f32_16x16x16_bf16 v[188:191], v[118:119], v[156:157], v[188:191]// 0000000059A0: D3E100BC 06F33976
	v_mov_b32_dpp v16, v65 quad_perm:[1,0,3,2] row_mask:0xf bank_mask:0xf// 0000000059A8: 7E2002FA FF00B141
	v_perm_b32 v57, v16, v65, v15                              // 0000000059B0: D1ED0039 043E8310
	buffer_atomic_add_f32 v149, v8, s[32:35], 0 offen offset:256// 0000000059B8: E1341100 80089508
	v_mfma_f32_16x16x16_bf16 v[192:195], v[120:121], v[156:157], v[192:195]// 0000000059C0: D3E100C0 07033978
	ds_write_b32 v13, v68 offset:6528                          // 0000000059C8: D81A1980 0000440D
	ds_write_b32 v13, v69 offset:7584                          // 0000000059D0: D81A1DA0 0000450D
	v_mfma_f32_16x16x16_bf16 v[196:199], v[122:123], v[156:157], v[196:199]// 0000000059D8: D3E100C4 0713397A
	ds_write_b32 v18, v56 offset:26112                         // 0000000059E0: D81A6600 00003812
	ds_write_b32 v18, v57 offset:26656                         // 0000000059E8: D81A6820 00003912
	v_mfma_f32_16x16x16_bf16 v[200:203], v[124:125], v[156:157], v[200:203]// 0000000059F0: D3E100C8 0723397C
	ds_write_b32 v13, v70 offset:8704                          // 0000000059F8: D81A2200 0000460D
	ds_write_b32 v13, v71 offset:9760                          // 000000005A00: D81A2620 0000470D
	v_mfma_f32_16x16x16_bf16 v[204:207], v[126:127], v[156:157], v[204:207]// 000000005A08: D3E100CC 0733397E
	ds_write_b32 v13, v72 offset:10880                         // 000000005A10: D81A2A80 0000480D
	ds_write_b32 v13, v73 offset:11936                         // 000000005A18: D81A2EA0 0000490D
	s_barrier                                                  // 000000005A20: BF8A0000
	v_mfma_f32_16x16x16_bf16 a[96:99], a[72:73], v[64:65], a[96:99]// 000000005A24: D3E18060 0D828148
	buffer_atomic_add_f32 v150, v7, s[32:35], 0 offen offset:384// 000000005A2C: E1341180 80089607
	buffer_atomic_add_f32 v151, v8, s[32:35], 0 offen offset:384// 000000005A34: E1341180 80089708
	v_mfma_f32_16x16x16_bf16 a[100:103], a[74:75], v[64:65], a[100:103]// 000000005A3C: D3E18064 0D92814A
	ds_read_b32 v128, v21 offset:41216                         // 000000005A44: D86CA100 80000015
	ds_read_b32 v158, v21 offset:41472                         // 000000005A4C: D86CA200 9E000015
	v_mfma_f32_16x16x16_bf16 a[104:107], a[76:77], v[64:65], a[104:107]// 000000005A54: D3E18068 0DA2814C
	s_waitcnt lgkmcnt(6)                                       // 000000005A5C: BF8CC67F
	s_barrier                                                  // 000000005A60: BF8A0000
	v_mfma_f32_16x16x16_bf16 a[108:111], a[78:79], v[64:65], a[108:111]// 000000005A64: D3E1806C 0DB2814E
	ds_read_b128 v[56:59], v17 offset:26112                    // 000000005A6C: D9FE6600 38000011
	v_mfma_f32_16x16x16_bf16 a[112:115], a[80:81], v[64:65], a[112:115]// 000000005A74: D3E18070 0DC28150
	s_mov_b64 exec, s[88:89]                                   // 000000005A7C: BEFE0158
	buffer_atomic_add_f32 v152, v7, s[32:35], 0 offen offset:512// 000000005A80: E1341200 80089807
	s_mov_b64 exec, s[84:85]                                   // 000000005A88: BEFE0154
	v_mfma_f32_16x16x16_bf16 a[116:119], a[82:83], v[64:65], a[116:119]// 000000005A8C: D3E18074 0DD28152
	ds_read_b128 v[60:63], v17 offset:27264                    // 000000005A94: D9FE6A80 3C000011
	v_mfma_f32_16x16x16_bf16 a[120:123], a[84:85], v[64:65], a[120:123]// 000000005A9C: D3E18078 0DE28154
	s_mov_b64 exec, s[88:89]                                   // 000000005AA4: BEFE0158
	buffer_atomic_add_f32 v153, v8, s[32:35], 0 offen offset:512// 000000005AA8: E1341200 80089908
	s_mov_b64 exec, s[84:85]                                   // 000000005AB0: BEFE0154
	v_mfma_f32_16x16x16_bf16 a[124:127], a[86:87], v[64:65], a[124:127]// 000000005AB4: D3E1807C 0DF28156
	ds_write_b32 v13, v74 offset:19584                         // 000000005ABC: D81A4C80 00004A0D
	ds_write_b32 v13, v75 offset:20640                         // 000000005AC4: D81A50A0 00004B0D
	v_mfma_f32_16x16x16_bf16 a[128:131], a[88:89], v[64:65], a[128:131]// 000000005ACC: D3E18080 0E028158
	s_mov_b64 exec, s[90:91]                                   // 000000005AD4: BEFE015A
	buffer_atomic_add_f32 v154, v7, s[32:35], 0 offen offset:640// 000000005AD8: E1341280 80089A07
	s_mov_b64 exec, s[84:85]                                   // 000000005AE0: BEFE0154
	v_mfma_f32_16x16x16_bf16 a[132:135], a[90:91], v[64:65], a[132:135]// 000000005AE4: D3E18084 0E12815A
	ds_write_b32 v13, v76 offset:21760                         // 000000005AEC: D81A5500 00004C0D
	ds_write_b32 v13, v77 offset:22816                         // 000000005AF4: D81A5920 00004D0D
	v_mfma_f32_16x16x16_bf16 a[136:139], a[92:93], v[64:65], a[136:139]// 000000005AFC: D3E18088 0E22815C
	s_mov_b64 exec, s[90:91]                                   // 000000005B04: BEFE015A
	buffer_atomic_add_f32 v155, v8, s[32:35], 0 offen offset:640// 000000005B08: E1341280 80089B08
	s_mov_b64 exec, s[84:85]                                   // 000000005B10: BEFE0154
	v_mfma_f32_16x16x16_bf16 a[140:143], a[94:95], v[64:65], a[140:143]// 000000005B14: D3E1808C 0E32815E
	ds_write_b32 v13, v78 offset:23936                         // 000000005B1C: D81A5D80 00004E0D
	ds_write_b32 v13, v79 offset:24992                         // 000000005B24: D81A61A0 00004F0D
	s_waitcnt vmcnt(12) lgkmcnt(6)                             // 000000005B2C: BF8C067C
	s_barrier                                                  // 000000005B30: BF8A0000
	v_mfma_f32_16x16x16_bf16 v[132:135], v[56:57], a[24:25], 0 // 000000005B34: D3E10084 12023138
	v_mul_f32_e32 v128, s48, v128                              // 000000005B3C: 0B010030
	v_perm_b32 v68, v33, v32, s63                              // 000000005B40: D1ED0044 00FE4121
	v_perm_b32 v69, v33, v32, s64                              // 000000005B48: D1ED0045 01024121
	v_perm_b32 v70, v35, v34, s63                              // 000000005B50: D1ED0046 00FE4523
	v_mfma_f32_16x16x16_bf16 v[132:135], v[58:59], a[30:31], v[132:135]// 000000005B58: D3E10084 16123D3A
	ds_read_b128 a[72:75], v10                                 // 000000005B60: DBFE0000 4800000A
	ds_read_b128 a[76:79], v10 offset:512                      // 000000005B68: DBFE0200 4C00000A
	ds_read_b128 a[80:83], v10 offset:2176                     // 000000005B70: DBFE0880 5000000A
	buffer_load_dword v38, v1, s[8:11], 0 idxen                // 000000005B78: E0502000 80022601
	buffer_load_dword v39, v2, s[8:11], 0 idxen                // 000000005B80: E0502000 80022702
	v_mfma_f32_16x16x16_bf16 v[132:135], v[60:61], a[36:37], v[132:135]// 000000005B88: D3E10084 1612493C
	v_perm_b32 v71, v35, v34, s64                              // 000000005B90: D1ED0047 01024523
	v_perm_b32 v72, v37, v36, s63                              // 000000005B98: D1ED0048 00FE4925
	v_perm_b32 v73, v37, v36, s64                              // 000000005BA0: D1ED0049 01024925
	v_mfma_f32_16x16x16_bf16 v[132:135], v[62:63], a[42:43], v[132:135]// 000000005BA8: D3E10084 1612553E
	ds_read_b128 a[84:87], v10 offset:2688                     // 000000005BB0: DBFE0A80 5400000A
	ds_read_b128 a[88:91], v10 offset:4352                     // 000000005BB8: DBFE1100 5800000A
	ds_read_b128 a[92:95], v10 offset:4864                     // 000000005BC0: DBFE1300 5C00000A
	buffer_load_dword v40, v1, s[8:11], 0 idxen offset:128     // 000000005BC8: E0502080 80022801
	buffer_load_dword v41, v2, s[8:11], 0 idxen offset:128     // 000000005BD0: E0502080 80022902
	v_mfma_f32_16x16x16_bf16 v[136:139], v[56:57], a[26:27], 0 // 000000005BD8: D3E10088 12023538
	v_perm_b32 v74, v45, v44, s63                              // 000000005BE0: D1ED004A 00FE592D
	v_perm_b32 v75, v45, v44, s64                              // 000000005BE8: D1ED004B 0102592D
	v_perm_b32 v76, v47, v46, s63                              // 000000005BF0: D1ED004C 00FE5D2F
	v_mov_b32_dpp v131, v128 quad_perm:[3,3,3,3] row_mask:0xf bank_mask:0xf// 000000005BF8: 7F0602FA FF00FF80
	v_mov_b32_dpp v130, v128 quad_perm:[2,2,2,2] row_mask:0xf bank_mask:0xf// 000000005C00: 7F0402FA FF00AA80
	v_mfma_f32_16x16x16_bf16 v[136:139], v[58:59], a[32:33], v[136:139]// 000000005C08: D3E10088 1622413A
	ds_read_b128 v[80:83], v10 offset:13056                    // 000000005C10: D9FE3300 5000000A
	ds_read_b128 v[84:87], v10 offset:13568                    // 000000005C18: D9FE3500 5400000A
	ds_read_b128 v[88:91], v10 offset:15232                    // 000000005C20: D9FE3B80 5800000A
	buffer_load_dword v50, v212, s[20:23], 0 idxen             // 000000005C28: E0502000 800532D4
	buffer_load_dword v51, v213, s[20:23], 0 idxen             // 000000005C30: E0502000 800533D5
	v_mfma_f32_16x16x16_bf16 v[136:139], v[60:61], a[38:39], v[136:139]// 000000005C38: D3E10088 16224D3C
	v_perm_b32 v77, v47, v46, s64                              // 000000005C40: D1ED004D 01025D2F
	v_perm_b32 v78, v49, v48, s63                              // 000000005C48: D1ED004E 00FE6131
	v_perm_b32 v79, v49, v48, s64                              // 000000005C50: D1ED004F 01026131
	v_mov_b32_dpp v129, v128 quad_perm:[1,1,1,1] row_mask:0xf bank_mask:0xf// 000000005C58: 7F0202FA FF005580
	v_mov_b32_dpp v128, v128 quad_perm:[0,0,0,0] row_mask:0xf bank_mask:0xf// 000000005C60: 7F0002FA FF000080
	v_mfma_f32_16x16x16_bf16 v[136:139], v[62:63], a[44:45], v[136:139]// 000000005C68: D3E10088 1622593E
	ds_read_b128 v[92:95], v10 offset:15744                    // 000000005C70: D9FE3D80 5C00000A
	ds_read_b128 v[96:99], v10 offset:17408                    // 000000005C78: D9FE4400 6000000A
	ds_read_b128 v[100:103], v10 offset:17920                  // 000000005C80: D9FE4600 6400000A
	buffer_load_dword v52, v212, s[20:23], 0 idxen offset:128  // 000000005C88: E0502080 800534D4
	buffer_load_dword v53, v213, s[20:23], 0 idxen offset:128  // 000000005C90: E0502080 800535D5
	v_mfma_f32_16x16x16_bf16 v[140:143], v[56:57], a[28:29], 0 // 000000005C98: D3E1008C 12023938
	s_add_u32 s60, 64, s59                                     // 000000005CA0: 803C3BC0
	s_cmp_lt_u32 s60, s58                                      // 000000005CA4: BF0A3A3C
	s_cselect_b32 s68, s68, 0                                  // 000000005CA8: 85448044
	s_cselect_b32 s101, s101, 0                                // 000000005CAC: 85658065
	s_cselect_b32 s69, s69, 0                                  // 000000005CB0: 85458045
	v_mfma_f32_16x16x16_bf16 v[140:143], v[58:59], a[34:35], v[140:143]// 000000005CB4: D3E1008C 1632453A
	buffer_load_dword v9, s[24:27], 0 idxen lds                // 000000005CBC: E0512000 80060009
	v_mov_b32_e32 v42, 0                                       // 000000005CC4: 7E540280
	s_mov_b64 exec, s[78:79]                                   // 000000005CC8: BEFE014E
	buffer_load_dword v42, v1, s[8:11], 0 idxen offset:256     // 000000005CCC: E0502100 80022A01
	s_mov_b64 exec, s[84:85]                                   // 000000005CD4: BEFE0154
	v_mov_b32_e32 v43, 0                                       // 000000005CD8: 7E560280
	s_mov_b64 exec, s[78:79]                                   // 000000005CDC: BEFE014E
	buffer_load_dword v43, v2, s[8:11], 0 idxen offset:256     // 000000005CE0: E0502100 80022B02
	s_mov_b64 exec, s[84:85]                                   // 000000005CE8: BEFE0154
	v_mfma_f32_16x16x16_bf16 v[140:143], v[60:61], a[40:41], v[140:143]// 000000005CEC: D3E1008C 1632513C
	v_mov_b32_e32 v54, 0                                       // 000000005CF4: 7E6C0280
	s_mov_b64 exec, s[78:79]                                   // 000000005CF8: BEFE014E
	buffer_load_dword v54, v212, s[20:23], 0 idxen offset:256  // 000000005CFC: E0502100 800536D4
	s_mov_b64 exec, s[84:85]                                   // 000000005D04: BEFE0154
	v_mov_b32_e32 v55, 0                                       // 000000005D08: 7E6E0280
	s_mov_b64 exec, s[78:79]                                   // 000000005D0C: BEFE014E
	buffer_load_dword v55, v213, s[20:23], 0 idxen offset:256  // 000000005D10: E0502100 800537D5
	s_mov_b64 exec, s[84:85]                                   // 000000005D18: BEFE0154
	v_add_u32_e32 v1, s68, v1                                  // 000000005D1C: 68020244
	v_add_u32_e32 v2, s68, v2                                  // 000000005D20: 68040444
	v_add_u32_e32 v212, s101, v212                             // 000000005D24: 69A9A865
	v_add_u32_e32 v213, s101, v213                             // 000000005D28: 69ABAA65
	s_mov_b32 m0, s76                                          // 000000005D2C: BEFC004C
	v_add_u32_e32 v9, s69, v9                                  // 000000005D30: 68121245
	v_mfma_f32_16x16x16_bf16 v[140:143], v[62:63], a[46:47], v[140:143]// 000000005D34: D3E1008C 16325D3E
	s_cmp_ge_u32 s59, 16                                       // 000000005D3C: BF09903B
	s_cselect_b32 s66, s67, s66                                // 000000005D40: 85424243
	s_addk_i32 s59, 0x10                                       // 000000005D44: B73B0010
	s_nop 0                                                    // 000000005D48: BF800000
	s_cmp_lt_i32 s59, s58                                      // 000000005D4C: BF043A3B
	s_cbranch_scc0 label_099C                                  // 000000005D50: BF8401C7
	s_waitcnt lgkmcnt(0)                                       // 000000005D54: BF8CC07F
	s_barrier                                                  // 000000005D58: BF8A0000
	v_mfma_f32_16x16x16_bf16 v[56:59], a[72:73], a[0:1], 0     // 000000005D5C: D3E10038 1A020148
	ds_write_b32 v11, v44 offset:13056                         // 000000005D64: D81A3300 00002C0B
	ds_write_b32 v11, v45 offset:14112                         // 000000005D6C: D81A3720 00002D0B
	ds_write_b32 v11, v46 offset:15232                         // 000000005D74: D81A3B80 00002E0B
	v_mfma_f32_16x16x16_bf16 v[56:59], a[74:75], a[2:3], v[56:59]// 000000005D7C: D3E10038 1CE2054A
	v_mul_f32_e32 v132, s47, v132                              // 000000005D84: 0B09082F
	v_mul_f32_e32 v133, s47, v133                              // 000000005D88: 0B0B0A2F
	v_mul_f32_e32 v134, s47, v134                              // 000000005D8C: 0B0D0C2F
	v_mul_f32_e32 v135, s47, v135                              // 000000005D90: 0B0F0E2F
	v_mfma_f32_16x16x16_bf16 v[56:59], a[76:77], a[4:5], v[56:59]// 000000005D94: D3E10038 1CE2094C
	ds_write_b32 v11, v47 offset:16288                         // 000000005D9C: D81A3FA0 00002F0B
	ds_write_b32 v11, v48 offset:17408                         // 000000005DA4: D81A4400 0000300B
	ds_write_b32 v11, v49 offset:18464                         // 000000005DAC: D81A4820 0000310B
	v_mfma_f32_16x16x16_bf16 v[56:59], a[78:79], a[6:7], v[56:59]// 000000005DB4: D3E10038 1CE20D4E
	v_mul_f32_e32 v136, s47, v136                              // 000000005DBC: 0B11102F
	v_mul_f32_e32 v137, s47, v137                              // 000000005DC0: 0B13122F
	v_mul_f32_e32 v138, s47, v138                              // 000000005DC4: 0B15142F
	v_mul_f32_e32 v139, s47, v139                              // 000000005DC8: 0B17162F
	v_mfma_f32_16x16x16_bf16 v[56:59], a[80:81], a[8:9], v[56:59]// 000000005DCC: D3E10038 1CE21150
	ds_write_b64 v20, v[132:133] offset:28416                  // 000000005DD4: D89A6F00 00008414
	ds_write_b64 v20, v[134:135] offset:28928                  // 000000005DDC: D89A7100 00008614
	v_mfma_f32_16x16x16_bf16 v[56:59], a[82:83], a[10:11], v[56:59]// 000000005DE4: D3E10038 1CE21552
	v_mul_f32_e32 v140, s47, v140                              // 000000005DEC: 0B19182F
	v_mul_f32_e32 v141, s47, v141                              // 000000005DF0: 0B1B1A2F
	v_mul_f32_e32 v142, s47, v142                              // 000000005DF4: 0B1D1C2F
	v_mul_f32_e32 v143, s47, v143                              // 000000005DF8: 0B1F1E2F
	v_mfma_f32_16x16x16_bf16 v[56:59], a[84:85], a[12:13], v[56:59]// 000000005DFC: D3E10038 1CE21954
	ds_write_b64 v20, v[136:137] offset:29440                  // 000000005E04: D89A7300 00008814
	ds_write_b64 v20, v[138:139] offset:29952                  // 000000005E0C: D89A7500 00008A14
	v_mfma_f32_16x16x16_bf16 v[56:59], a[86:87], a[14:15], v[56:59]// 000000005E14: D3E10038 1CE21D56
	ds_write_b64 v20, v[140:141] offset:30464                  // 000000005E1C: D89A7700 00008C14
	ds_write_b64 v20, v[142:143] offset:30976                  // 000000005E24: D89A7900 00008E14
	v_mfma_f32_16x16x16_bf16 v[56:59], a[88:89], a[16:17], v[56:59]// 000000005E2C: D3E10038 1CE22158
	ds_read_b128 v[104:107], v12 offset:19584                  // 000000005E34: D9FE4C80 6800000C
	v_mfma_f32_16x16x16_bf16 v[56:59], a[90:91], a[18:19], v[56:59]// 000000005E3C: D3E10038 1CE2255A
	ds_read_b128 v[108:111], v12 offset:20096                  // 000000005E44: D9FE4E80 6C00000C
	v_mfma_f32_16x16x16_bf16 v[56:59], a[92:93], a[20:21], v[56:59]// 000000005E4C: D3E10038 1CE2295C
	ds_read_b128 v[112:115], v12 offset:21760                  // 000000005E54: D9FE5500 7000000C
	ds_read_b128 v[116:119], v12 offset:22272                  // 000000005E5C: D9FE5700 7400000C
	v_mfma_f32_16x16x16_bf16 v[56:59], a[94:95], a[22:23], v[56:59]// 000000005E64: D3E10038 1CE22D5E
	ds_read_b128 v[120:123], v12 offset:23936                  // 000000005E6C: D9FE5D80 7800000C
	ds_read_b128 v[124:127], v12 offset:24448                  // 000000005E74: D9FE5F80 7C00000C
	s_cmp_lt_i32 s81, 64                                       // 000000005E7C: BF04C051
	s_cbranch_scc0 label_0830                                  // 000000005E80: BF84000F
	v_and_b32_e32 v28, 15, v0                                  // 000000005E84: 2638008F
	v_mul_i32_i24_e64 v29, s46, 16                             // 000000005E88: D106001D 0001202E
	v_add_u32_e32 v28, v28, v29                                // 000000005E90: 68383B1C
	v_cmp_lt_u32_e64 s[60:61], v28, s81                        // 000000005E94: D0C9003C 0000A31C
	s_nop 1                                                    // 000000005E9C: BF800001
	v_cndmask_b32_e64 v56, v159, v56, s[60:61]                 // 000000005EA0: D1000038 00F2719F
	v_cndmask_b32_e64 v57, v159, v57, s[60:61]                 // 000000005EA8: D1000039 00F2739F
	v_cndmask_b32_e64 v58, v159, v58, s[60:61]                 // 000000005EB0: D100003A 00F2759F
	v_cndmask_b32_e64 v59, v159, v59, s[60:61]                 // 000000005EB8: D100003B 00F2779F

0000000000005ec0 <label_0830>:
	s_waitcnt lgkmcnt(6)                                       // 000000005EC0: BF8CC67F
	s_barrier                                                  // 000000005EC4: BF8A0000
	v_mfma_f32_16x16x16_bf16 v[64:67], v[80:81], a[48:49], 0   // 000000005EC8: D3E10040 12026150
	ds_read_b128 a[72:75], v12 offset:6528                     // 000000005ED0: DBFE1980 4800000C
	ds_read_b128 a[76:79], v12 offset:7040                     // 000000005ED8: DBFE1B80 4C00000C
	ds_write_b32 v11, v32                                      // 000000005EE0: D81A0000 0000200B
	ds_write_b32 v11, v33 offset:1056                          // 000000005EE8: D81A0420 0000210B
	v_mfma_f32_16x16x16_bf16 v[64:67], v[82:83], a[50:51], v[64:67]// 000000005EF0: D3E10040 15026552
	v_fma_f32 v56, v56, s57, -v128                             // 000000005EF8: D1CB0038 86007338
	v_fma_f32 v57, v57, s57, -v129                             // 000000005F00: D1CB0039 86047339
	v_fma_f32 v58, v58, s57, -v130                             // 000000005F08: D1CB003A 8608733A
	v_fma_f32 v59, v59, s57, -v131                             // 000000005F10: D1CB003B 860C733B
	v_mfma_f32_16x16x16_bf16 v[64:67], v[84:85], a[52:53], v[64:67]// 000000005F18: D3E10040 15026954
	ds_read_b128 a[80:83], v12 offset:8704                     // 000000005F20: DBFE2200 5000000C
	ds_read_b128 a[84:87], v12 offset:9216                     // 000000005F28: DBFE2400 5400000C
	ds_write_b32 v11, v34 offset:2176                          // 000000005F30: D81A0880 0000220B
	v_mfma_f32_16x16x16_bf16 v[64:67], v[86:87], a[54:55], v[64:67]// 000000005F38: D3E10040 15026D56
	v_exp_f32_e32 v56, v56                                     // 000000005F40: 7E704138
	v_mfma_f32_16x16x16_bf16 v[64:67], v[88:89], a[56:57], v[64:67]// 000000005F44: D3E10040 15027158
	ds_read_b128 a[88:91], v12 offset:10880                    // 000000005F4C: DBFE2A80 5800000C
	ds_read_b128 a[92:95], v12 offset:11392                    // 000000005F54: DBFE2C80 5C00000C
	ds_write_b32 v11, v35 offset:3232                          // 000000005F5C: D81A0CA0 0000230B
	v_mfma_f32_16x16x16_bf16 v[64:67], v[90:91], a[58:59], v[64:67]// 000000005F64: D3E10040 1502755A
	v_exp_f32_e32 v57, v57                                     // 000000005F6C: 7E724139
	v_mfma_f32_16x16x16_bf16 v[64:67], v[92:93], a[60:61], v[64:67]// 000000005F70: D3E10040 1502795C
	ds_read_b64 v[144:145], v19 offset:28416                   // 000000005F78: D8EC6F00 90000013
	ds_read_b64 v[146:147], v19 offset:30464                   // 000000005F80: D8EC7700 92000013
	ds_read_b64 v[148:149], v19 offset:32512                   // 000000005F88: D8EC7F00 94000013
	ds_write_b32 v11, v36 offset:4352                          // 000000005F90: D81A1100 0000240B
	v_mfma_f32_16x16x16_bf16 v[64:67], v[94:95], a[62:63], v[64:67]// 000000005F98: D3E10040 15027D5E
	v_exp_f32_e32 v58, v58                                     // 000000005FA0: 7E74413A
	v_mfma_f32_16x16x16_bf16 v[64:67], v[96:97], a[64:65], v[64:67]// 000000005FA4: D3E10040 15028160
	ds_read_b64 v[150:151], v19 offset:34560                   // 000000005FAC: D8EC8700 96000013
	ds_read_b64 v[152:153], v19 offset:36608                   // 000000005FB4: D8EC8F00 98000013
	ds_read_b64 v[154:155], v19 offset:38656                   // 000000005FBC: D8EC9700 9A000013
	ds_write_b32 v11, v37 offset:5408                          // 000000005FC4: D81A1520 0000250B
	v_mfma_f32_16x16x16_bf16 v[64:67], v[98:99], a[66:67], v[64:67]// 000000005FCC: D3E10040 15028562
	v_exp_f32_e32 v59, v59                                     // 000000005FD4: 7E76413B
	v_mfma_f32_16x16x16_bf16 v[64:67], v[100:101], a[68:69], v[64:67]// 000000005FD8: D3E10040 15028964
	v_perm_b32 v156, v57, v56, s64                             // 000000005FE0: D1ED009C 01027139
	v_mfma_f32_16x16x16_bf16 v[64:67], v[102:103], a[70:71], v[64:67]// 000000005FE8: D3E10040 15028D66
	v_perm_b32 v157, v59, v58, s64                             // 000000005FF0: D1ED009D 0102753B
	v_add_u32_e32 v7, s66, v7                                  // 000000005FF8: 680E0E42
	v_add_u32_e32 v8, s66, v8                                  // 000000005FFC: 68101042
	s_waitcnt lgkmcnt(0)                                       // 000000006000: BF8CC07F
	s_barrier                                                  // 000000006004: BF8A0000
	v_mfma_f32_16x16x16_bf16 v[160:163], v[104:105], v[156:157], v[160:163]// 000000006008: D3E100A0 06833968
	v_subrev_f32_dpp v64, v158, v64 quad_perm:[0,0,0,0] row_mask:0xf bank_mask:0xf// 000000006010: 068080FA FF00009E
	v_subrev_f32_dpp v65, v158, v65 quad_perm:[1,1,1,1] row_mask:0xf bank_mask:0xf// 000000006018: 068282FA FF00559E
	buffer_atomic_add_f32 v144, v7, s[32:35], 0 offen          // 000000006020: E1341000 80089007
	v_mfma_f32_16x16x16_bf16 v[164:167], v[106:107], v[156:157], v[164:167]// 000000006028: D3E100A4 0693396A
	v_subrev_f32_dpp v66, v158, v66 quad_perm:[2,2,2,2] row_mask:0xf bank_mask:0xf// 000000006030: 068484FA FF00AA9E
	v_subrev_f32_dpp v67, v158, v67 quad_perm:[3,3,3,3] row_mask:0xf bank_mask:0xf// 000000006038: 068686FA FF00FF9E
	buffer_atomic_add_f32 v145, v8, s[32:35], 0 offen          // 000000006040: E1341000 80089108
	v_mfma_f32_16x16x16_bf16 v[168:171], v[108:109], v[156:157], v[168:171]// 000000006048: D3E100A8 06A3396C
	v_mul_f32_e32 v64, v56, v64                                // 000000006050: 0A808138
	v_mul_f32_e32 v65, v57, v65                                // 000000006054: 0A828339
	buffer_atomic_add_f32 v146, v7, s[32:35], 0 offen offset:128// 000000006058: E1341080 80089207
	v_mfma_f32_16x16x16_bf16 v[172:175], v[110:111], v[156:157], v[172:175]// 000000006060: D3E100AC 06B3396E
	v_mul_f32_e32 v66, v58, v66                                // 000000006068: 0A84853A
	v_mul_f32_e32 v67, v59, v67                                // 00000000606C: 0A86873B
	buffer_atomic_add_f32 v147, v8, s[32:35], 0 offen offset:128// 000000006070: E1341080 80089308
	v_mfma_f32_16x16x16_bf16 v[176:179], v[112:113], v[156:157], v[176:179]// 000000006078: D3E100B0 06C33970
	v_perm_b32 v64, v65, v64, s64                              // 000000006080: D1ED0040 01028141
	v_mfma_f32_16x16x16_bf16 v[180:183], v[114:115], v[156:157], v[180:183]// 000000006088: D3E100B4 06D33972
	v_perm_b32 v65, v67, v66, s64                              // 000000006090: D1ED0041 01028543
	v_mfma_f32_16x16x16_bf16 v[184:187], v[116:117], v[156:157], v[184:187]// 000000006098: D3E100B8 06E33974
	v_mov_b32_dpp v16, v64 quad_perm:[1,0,3,2] row_mask:0xf bank_mask:0xf// 0000000060A0: 7E2002FA FF00B140
	v_perm_b32 v56, v16, v64, v15                              // 0000000060A8: D1ED0038 043E8110
	buffer_atomic_add_f32 v148, v7, s[32:35], 0 offen offset:256// 0000000060B0: E1341100 80089407
	v_mfma_f32_16x16x16_bf16 v[188:191], v[118:119], v[156:157], v[188:191]// 0000000060B8: D3E100BC 06F33976
	v_mov_b32_dpp v16, v65 quad_perm:[1,0,3,2] row_mask:0xf bank_mask:0xf// 0000000060C0: 7E2002FA FF00B141
	v_perm_b32 v57, v16, v65, v15                              // 0000000060C8: D1ED0039 043E8310
	buffer_atomic_add_f32 v149, v8, s[32:35], 0 offen offset:256// 0000000060D0: E1341100 80089508
	v_mfma_f32_16x16x16_bf16 v[192:195], v[120:121], v[156:157], v[192:195]// 0000000060D8: D3E100C0 07033978
	ds_write_b32 v13, v68 offset:6528                          // 0000000060E0: D81A1980 0000440D
	ds_write_b32 v13, v69 offset:7584                          // 0000000060E8: D81A1DA0 0000450D
	v_mfma_f32_16x16x16_bf16 v[196:199], v[122:123], v[156:157], v[196:199]// 0000000060F0: D3E100C4 0713397A
	ds_write_b32 v18, v56 offset:26112                         // 0000000060F8: D81A6600 00003812
	ds_write_b32 v18, v57 offset:26656                         // 000000006100: D81A6820 00003912
	v_mfma_f32_16x16x16_bf16 v[200:203], v[124:125], v[156:157], v[200:203]// 000000006108: D3E100C8 0723397C
	ds_write_b32 v13, v70 offset:8704                          // 000000006110: D81A2200 0000460D
	ds_write_b32 v13, v71 offset:9760                          // 000000006118: D81A2620 0000470D
	v_mfma_f32_16x16x16_bf16 v[204:207], v[126:127], v[156:157], v[204:207]// 000000006120: D3E100CC 0733397E
	ds_write_b32 v13, v72 offset:10880                         // 000000006128: D81A2A80 0000480D
	ds_write_b32 v13, v73 offset:11936                         // 000000006130: D81A2EA0 0000490D
	s_barrier                                                  // 000000006138: BF8A0000
	v_mfma_f32_16x16x16_bf16 a[96:99], a[72:73], v[64:65], a[96:99]// 00000000613C: D3E18060 0D828148
	buffer_atomic_add_f32 v150, v7, s[32:35], 0 offen offset:384// 000000006144: E1341180 80089607
	buffer_atomic_add_f32 v151, v8, s[32:35], 0 offen offset:384// 00000000614C: E1341180 80089708
	v_mfma_f32_16x16x16_bf16 a[100:103], a[74:75], v[64:65], a[100:103]// 000000006154: D3E18064 0D92814A
	ds_read_b32 v128, v21 offset:40704                         // 00000000615C: D86C9F00 80000015
	ds_read_b32 v158, v21 offset:40960                         // 000000006164: D86CA000 9E000015
	v_mfma_f32_16x16x16_bf16 a[104:107], a[76:77], v[64:65], a[104:107]// 00000000616C: D3E18068 0DA2814C
	s_waitcnt lgkmcnt(6)                                       // 000000006174: BF8CC67F
	s_barrier                                                  // 000000006178: BF8A0000
	v_mfma_f32_16x16x16_bf16 a[108:111], a[78:79], v[64:65], a[108:111]// 00000000617C: D3E1806C 0DB2814E
	ds_read_b128 v[56:59], v17 offset:26112                    // 000000006184: D9FE6600 38000011
	v_mfma_f32_16x16x16_bf16 a[112:115], a[80:81], v[64:65], a[112:115]// 00000000618C: D3E18070 0DC28150
	s_mov_b64 exec, s[88:89]                                   // 000000006194: BEFE0158
	buffer_atomic_add_f32 v152, v7, s[32:35], 0 offen offset:512// 000000006198: E1341200 80089807
	s_mov_b64 exec, s[84:85]                                   // 0000000061A0: BEFE0154
	v_mfma_f32_16x16x16_bf16 a[116:119], a[82:83], v[64:65], a[116:119]// 0000000061A4: D3E18074 0DD28152
	ds_read_b128 v[60:63], v17 offset:27264                    // 0000000061AC: D9FE6A80 3C000011
	v_mfma_f32_16x16x16_bf16 a[120:123], a[84:85], v[64:65], a[120:123]// 0000000061B4: D3E18078 0DE28154
	s_mov_b64 exec, s[88:89]                                   // 0000000061BC: BEFE0158
	buffer_atomic_add_f32 v153, v8, s[32:35], 0 offen offset:512// 0000000061C0: E1341200 80089908
	s_mov_b64 exec, s[84:85]                                   // 0000000061C8: BEFE0154
	v_mfma_f32_16x16x16_bf16 a[124:127], a[86:87], v[64:65], a[124:127]// 0000000061CC: D3E1807C 0DF28156
	ds_write_b32 v13, v74 offset:19584                         // 0000000061D4: D81A4C80 00004A0D
	ds_write_b32 v13, v75 offset:20640                         // 0000000061DC: D81A50A0 00004B0D
	v_mfma_f32_16x16x16_bf16 a[128:131], a[88:89], v[64:65], a[128:131]// 0000000061E4: D3E18080 0E028158
	s_mov_b64 exec, s[90:91]                                   // 0000000061EC: BEFE015A
	buffer_atomic_add_f32 v154, v7, s[32:35], 0 offen offset:640// 0000000061F0: E1341280 80089A07
	s_mov_b64 exec, s[84:85]                                   // 0000000061F8: BEFE0154
	v_mfma_f32_16x16x16_bf16 a[132:135], a[90:91], v[64:65], a[132:135]// 0000000061FC: D3E18084 0E12815A
	ds_write_b32 v13, v76 offset:21760                         // 000000006204: D81A5500 00004C0D
	ds_write_b32 v13, v77 offset:22816                         // 00000000620C: D81A5920 00004D0D
	v_mfma_f32_16x16x16_bf16 a[136:139], a[92:93], v[64:65], a[136:139]// 000000006214: D3E18088 0E22815C
	s_mov_b64 exec, s[90:91]                                   // 00000000621C: BEFE015A
	buffer_atomic_add_f32 v155, v8, s[32:35], 0 offen offset:640// 000000006220: E1341280 80089B08
	s_mov_b64 exec, s[84:85]                                   // 000000006228: BEFE0154
	v_mfma_f32_16x16x16_bf16 a[140:143], a[94:95], v[64:65], a[140:143]// 00000000622C: D3E1808C 0E32815E
	ds_write_b32 v13, v78 offset:23936                         // 000000006234: D81A5D80 00004E0D
	ds_write_b32 v13, v79 offset:24992                         // 00000000623C: D81A61A0 00004F0D
	s_waitcnt vmcnt(12) lgkmcnt(6)                             // 000000006244: BF8C067C
	s_barrier                                                  // 000000006248: BF8A0000
	v_mfma_f32_16x16x16_bf16 v[132:135], v[56:57], a[24:25], 0 // 00000000624C: D3E10084 12023138
	v_mul_f32_e32 v128, s48, v128                              // 000000006254: 0B010030
	v_perm_b32 v68, v39, v38, s63                              // 000000006258: D1ED0044 00FE4D27
	v_perm_b32 v69, v39, v38, s64                              // 000000006260: D1ED0045 01024D27
	v_perm_b32 v70, v41, v40, s63                              // 000000006268: D1ED0046 00FE5129
	v_mfma_f32_16x16x16_bf16 v[132:135], v[58:59], a[30:31], v[132:135]// 000000006270: D3E10084 16123D3A
	ds_read_b128 a[72:75], v10                                 // 000000006278: DBFE0000 4800000A
	ds_read_b128 a[76:79], v10 offset:512                      // 000000006280: DBFE0200 4C00000A
	ds_read_b128 a[80:83], v10 offset:2176                     // 000000006288: DBFE0880 5000000A
	buffer_load_dword v32, v1, s[8:11], 0 idxen                // 000000006290: E0502000 80022001
	buffer_load_dword v33, v2, s[8:11], 0 idxen                // 000000006298: E0502000 80022102
	v_mfma_f32_16x16x16_bf16 v[132:135], v[60:61], a[36:37], v[132:135]// 0000000062A0: D3E10084 1612493C
	v_perm_b32 v71, v41, v40, s64                              // 0000000062A8: D1ED0047 01025129
	v_perm_b32 v72, v43, v42, s63                              // 0000000062B0: D1ED0048 00FE552B
	v_perm_b32 v73, v43, v42, s64                              // 0000000062B8: D1ED0049 0102552B
	v_mfma_f32_16x16x16_bf16 v[132:135], v[62:63], a[42:43], v[132:135]// 0000000062C0: D3E10084 1612553E
	ds_read_b128 a[84:87], v10 offset:2688                     // 0000000062C8: DBFE0A80 5400000A
	ds_read_b128 a[88:91], v10 offset:4352                     // 0000000062D0: DBFE1100 5800000A
	ds_read_b128 a[92:95], v10 offset:4864                     // 0000000062D8: DBFE1300 5C00000A
	buffer_load_dword v34, v1, s[8:11], 0 idxen offset:128     // 0000000062E0: E0502080 80022201
	buffer_load_dword v35, v2, s[8:11], 0 idxen offset:128     // 0000000062E8: E0502080 80022302
	v_mfma_f32_16x16x16_bf16 v[136:139], v[56:57], a[26:27], 0 // 0000000062F0: D3E10088 12023538
	v_perm_b32 v74, v51, v50, s63                              // 0000000062F8: D1ED004A 00FE6533
	v_perm_b32 v75, v51, v50, s64                              // 000000006300: D1ED004B 01026533
	v_perm_b32 v76, v53, v52, s63                              // 000000006308: D1ED004C 00FE6935
	v_mov_b32_dpp v131, v128 quad_perm:[3,3,3,3] row_mask:0xf bank_mask:0xf// 000000006310: 7F0602FA FF00FF80
	v_mov_b32_dpp v130, v128 quad_perm:[2,2,2,2] row_mask:0xf bank_mask:0xf// 000000006318: 7F0402FA FF00AA80
	v_mfma_f32_16x16x16_bf16 v[136:139], v[58:59], a[32:33], v[136:139]// 000000006320: D3E10088 1622413A
	ds_read_b128 v[80:83], v10 offset:13056                    // 000000006328: D9FE3300 5000000A
	ds_read_b128 v[84:87], v10 offset:13568                    // 000000006330: D9FE3500 5400000A
	ds_read_b128 v[88:91], v10 offset:15232                    // 000000006338: D9FE3B80 5800000A
	buffer_load_dword v44, v212, s[20:23], 0 idxen             // 000000006340: E0502000 80052CD4
	buffer_load_dword v45, v213, s[20:23], 0 idxen             // 000000006348: E0502000 80052DD5
	v_mfma_f32_16x16x16_bf16 v[136:139], v[60:61], a[38:39], v[136:139]// 000000006350: D3E10088 16224D3C
	v_perm_b32 v77, v53, v52, s64                              // 000000006358: D1ED004D 01026935
	v_perm_b32 v78, v55, v54, s63                              // 000000006360: D1ED004E 00FE6D37
	v_perm_b32 v79, v55, v54, s64                              // 000000006368: D1ED004F 01026D37
	v_mov_b32_dpp v129, v128 quad_perm:[1,1,1,1] row_mask:0xf bank_mask:0xf// 000000006370: 7F0202FA FF005580
	v_mov_b32_dpp v128, v128 quad_perm:[0,0,0,0] row_mask:0xf bank_mask:0xf// 000000006378: 7F0002FA FF000080
	v_mfma_f32_16x16x16_bf16 v[136:139], v[62:63], a[44:45], v[136:139]// 000000006380: D3E10088 1622593E
	ds_read_b128 v[92:95], v10 offset:15744                    // 000000006388: D9FE3D80 5C00000A
	ds_read_b128 v[96:99], v10 offset:17408                    // 000000006390: D9FE4400 6000000A
	ds_read_b128 v[100:103], v10 offset:17920                  // 000000006398: D9FE4600 6400000A
	buffer_load_dword v46, v212, s[20:23], 0 idxen offset:128  // 0000000063A0: E0502080 80052ED4
	buffer_load_dword v47, v213, s[20:23], 0 idxen offset:128  // 0000000063A8: E0502080 80052FD5
	v_mfma_f32_16x16x16_bf16 v[140:143], v[56:57], a[28:29], 0 // 0000000063B0: D3E1008C 12023938
	s_add_u32 s60, 64, s59                                     // 0000000063B8: 803C3BC0
	s_cmp_lt_u32 s60, s58                                      // 0000000063BC: BF0A3A3C
	s_cselect_b32 s68, s68, 0                                  // 0000000063C0: 85448044
	s_cselect_b32 s101, s101, 0                                // 0000000063C4: 85658065
	s_cselect_b32 s69, s69, 0                                  // 0000000063C8: 85458045
	v_mfma_f32_16x16x16_bf16 v[140:143], v[58:59], a[34:35], v[140:143]// 0000000063CC: D3E1008C 1632453A
	buffer_load_dword v9, s[24:27], 0 idxen lds                // 0000000063D4: E0512000 80060009
	v_mov_b32_e32 v36, 0                                       // 0000000063DC: 7E480280
	s_mov_b64 exec, s[78:79]                                   // 0000000063E0: BEFE014E
	buffer_load_dword v36, v1, s[8:11], 0 idxen offset:256     // 0000000063E4: E0502100 80022401
	s_mov_b64 exec, s[84:85]                                   // 0000000063EC: BEFE0154
	v_mov_b32_e32 v37, 0                                       // 0000000063F0: 7E4A0280
	s_mov_b64 exec, s[78:79]                                   // 0000000063F4: BEFE014E
	buffer_load_dword v37, v2, s[8:11], 0 idxen offset:256     // 0000000063F8: E0502100 80022502
	s_mov_b64 exec, s[84:85]                                   // 000000006400: BEFE0154
	v_mfma_f32_16x16x16_bf16 v[140:143], v[60:61], a[40:41], v[140:143]// 000000006404: D3E1008C 1632513C
	v_mov_b32_e32 v48, 0                                       // 00000000640C: 7E600280
	s_mov_b64 exec, s[78:79]                                   // 000000006410: BEFE014E
	buffer_load_dword v48, v212, s[20:23], 0 idxen offset:256  // 000000006414: E0502100 800530D4
	s_mov_b64 exec, s[84:85]                                   // 00000000641C: BEFE0154
	v_mov_b32_e32 v49, 0                                       // 000000006420: 7E620280
	s_mov_b64 exec, s[78:79]                                   // 000000006424: BEFE014E
	buffer_load_dword v49, v213, s[20:23], 0 idxen offset:256  // 000000006428: E0502100 800531D5
	s_mov_b64 exec, s[84:85]                                   // 000000006430: BEFE0154
	v_add_u32_e32 v1, s68, v1                                  // 000000006434: 68020244
	v_add_u32_e32 v2, s68, v2                                  // 000000006438: 68040444
	v_add_u32_e32 v212, s101, v212                             // 00000000643C: 69A9A865
	v_add_u32_e32 v213, s101, v213                             // 000000006440: 69ABAA65
	s_mov_b32 m0, s77                                          // 000000006444: BEFC004D
	v_add_u32_e32 v9, s69, v9                                  // 000000006448: 68121245
	v_mfma_f32_16x16x16_bf16 v[140:143], v[62:63], a[46:47], v[140:143]// 00000000644C: D3E1008C 16325D3E
	s_cmp_ge_u32 s59, 16                                       // 000000006454: BF09903B
	s_cselect_b32 s66, s67, s66                                // 000000006458: 85424243
	s_addk_i32 s59, 0x10                                       // 00000000645C: B73B0010
	s_nop 0                                                    // 000000006460: BF800000
	s_cmp_lt_i32 s59, s58                                      // 000000006464: BF043A3B
	s_cbranch_scc0 label_099C                                  // 000000006468: BF840001
	s_branch label_060F                                        // 00000000646C: BF82FC73

0000000000006470 <label_099C>:
	s_nop 0                                                    // 000000006470: BF800000
	s_nop 0                                                    // 000000006474: BF800000
	s_branch label_0D2C                                        // 000000006478: BF82038D

000000000000647c <label_099F>:
	s_waitcnt lgkmcnt(0)                                       // 00000000647C: BF8CC07F
	s_barrier                                                  // 000000006480: BF8A0000
	v_mfma_f32_16x16x16_bf16 v[56:59], a[72:73], a[0:1], 0     // 000000006484: D3E10038 1A020148
	v_mul_f32_e32 v132, s47, v132                              // 00000000648C: 0B09082F
	v_mul_f32_e32 v133, s47, v133                              // 000000006490: 0B0B0A2F
	v_mul_f32_e32 v134, s47, v134                              // 000000006494: 0B0D0C2F
	v_mul_f32_e32 v135, s47, v135                              // 000000006498: 0B0F0E2F
	v_mfma_f32_16x16x16_bf16 v[56:59], a[74:75], a[2:3], v[56:59]// 00000000649C: D3E10038 1CE2054A
	ds_write_b32 v11, v50 offset:13056                         // 0000000064A4: D81A3300 0000320B
	ds_write_b32 v11, v51 offset:14112                         // 0000000064AC: D81A3720 0000330B
	ds_write_b32 v11, v52 offset:15232                         // 0000000064B4: D81A3B80 0000340B
	v_mfma_f32_16x16x16_bf16 v[56:59], a[76:77], a[4:5], v[56:59]// 0000000064BC: D3E10038 1CE2094C
	v_mul_f32_e32 v136, s47, v136                              // 0000000064C4: 0B11102F
	v_mul_f32_e32 v137, s47, v137                              // 0000000064C8: 0B13122F
	v_mul_f32_e32 v138, s47, v138                              // 0000000064CC: 0B15142F
	v_mul_f32_e32 v139, s47, v139                              // 0000000064D0: 0B17162F
	v_mfma_f32_16x16x16_bf16 v[56:59], a[78:79], a[6:7], v[56:59]// 0000000064D4: D3E10038 1CE20D4E
	ds_write_b32 v11, v53 offset:16288                         // 0000000064DC: D81A3FA0 0000350B
	ds_write_b32 v11, v54 offset:17408                         // 0000000064E4: D81A4400 0000360B
	ds_write_b32 v11, v55 offset:18464                         // 0000000064EC: D81A4820 0000370B
	v_mfma_f32_16x16x16_bf16 v[56:59], a[80:81], a[8:9], v[56:59]// 0000000064F4: D3E10038 1CE21150
	v_mul_f32_e32 v140, s47, v140                              // 0000000064FC: 0B19182F
	v_mul_f32_e32 v141, s47, v141                              // 000000006500: 0B1B1A2F
	v_mul_f32_e32 v142, s47, v142                              // 000000006504: 0B1D1C2F
	v_mul_f32_e32 v143, s47, v143                              // 000000006508: 0B1F1E2F
	v_mfma_f32_16x16x16_bf16 v[56:59], a[82:83], a[10:11], v[56:59]// 00000000650C: D3E10038 1CE21552
	ds_write_b64 v20, v[132:133] offset:28416                  // 000000006514: D89A6F00 00008414
	ds_write_b64 v20, v[134:135] offset:28928                  // 00000000651C: D89A7100 00008614
	v_mfma_f32_16x16x16_bf16 v[56:59], a[84:85], a[12:13], v[56:59]// 000000006524: D3E10038 1CE21954
	ds_write_b64 v20, v[136:137] offset:29440                  // 00000000652C: D89A7300 00008814
	ds_write_b64 v20, v[138:139] offset:29952                  // 000000006534: D89A7500 00008A14
	v_mfma_f32_16x16x16_bf16 v[56:59], a[86:87], a[14:15], v[56:59]// 00000000653C: D3E10038 1CE21D56
	ds_write_b64 v20, v[140:141] offset:30464                  // 000000006544: D89A7700 00008C14
	ds_write_b64 v20, v[142:143] offset:30976                  // 00000000654C: D89A7900 00008E14
	v_mfma_f32_16x16x16_bf16 v[56:59], a[88:89], a[16:17], v[56:59]// 000000006554: D3E10038 1CE22158
	ds_read_b128 v[104:107], v12 offset:19584                  // 00000000655C: D9FE4C80 6800000C
	v_mfma_f32_16x16x16_bf16 v[56:59], a[90:91], a[18:19], v[56:59]// 000000006564: D3E10038 1CE2255A
	ds_read_b128 v[108:111], v12 offset:20096                  // 00000000656C: D9FE4E80 6C00000C
	v_mfma_f32_16x16x16_bf16 v[56:59], a[92:93], a[20:21], v[56:59]// 000000006574: D3E10038 1CE2295C
	ds_read_b128 v[112:115], v12 offset:21760                  // 00000000657C: D9FE5500 7000000C
	ds_read_b128 v[116:119], v12 offset:22272                  // 000000006584: D9FE5700 7400000C
	v_mfma_f32_16x16x16_bf16 v[56:59], a[94:95], a[22:23], v[56:59]// 00000000658C: D3E10038 1CE22D5E
	ds_read_b128 v[120:123], v12 offset:23936                  // 000000006594: D9FE5D80 7800000C
	ds_read_b128 v[124:127], v12 offset:24448                  // 00000000659C: D9FE5F80 7C00000C
	s_cmp_lt_i32 s81, 64                                       // 0000000065A4: BF04C051
	s_cbranch_scc0 label_09FA                                  // 0000000065A8: BF84000F
	v_and_b32_e32 v28, 15, v0                                  // 0000000065AC: 2638008F
	v_mul_i32_i24_e64 v29, s46, 16                             // 0000000065B0: D106001D 0001202E
	v_add_u32_e32 v28, v28, v29                                // 0000000065B8: 68383B1C
	v_cmp_lt_u32_e64 s[60:61], v28, s81                        // 0000000065BC: D0C9003C 0000A31C
	s_nop 1                                                    // 0000000065C4: BF800001
	v_cndmask_b32_e64 v56, v159, v56, s[60:61]                 // 0000000065C8: D1000038 00F2719F
	v_cndmask_b32_e64 v57, v159, v57, s[60:61]                 // 0000000065D0: D1000039 00F2739F
	v_cndmask_b32_e64 v58, v159, v58, s[60:61]                 // 0000000065D8: D100003A 00F2759F
	v_cndmask_b32_e64 v59, v159, v59, s[60:61]                 // 0000000065E0: D100003B 00F2779F

00000000000065e8 <label_09FA>:
	s_waitcnt lgkmcnt(6)                                       // 0000000065E8: BF8CC67F
	s_barrier                                                  // 0000000065EC: BF8A0000
	v_mfma_f32_16x16x16_bf16 v[64:67], v[80:81], a[48:49], 0   // 0000000065F0: D3E10040 12026150
	v_fma_f32 v56, v56, s57, -v128                             // 0000000065F8: D1CB0038 86007338
	v_fma_f32 v57, v57, s57, -v129                             // 000000006600: D1CB0039 86047339
	v_fma_f32 v58, v58, s57, -v130                             // 000000006608: D1CB003A 8608733A
	v_fma_f32 v59, v59, s57, -v131                             // 000000006610: D1CB003B 860C733B
	v_mfma_f32_16x16x16_bf16 v[64:67], v[82:83], a[50:51], v[64:67]// 000000006618: D3E10040 15026552
	ds_read_b128 a[72:75], v12 offset:6528                     // 000000006620: DBFE1980 4800000C
	ds_read_b128 a[76:79], v12 offset:7040                     // 000000006628: DBFE1B80 4C00000C
	ds_write_b32 v11, v38                                      // 000000006630: D81A0000 0000260B
	ds_write_b32 v11, v39 offset:1056                          // 000000006638: D81A0420 0000270B
	v_mfma_f32_16x16x16_bf16 v[64:67], v[84:85], a[52:53], v[64:67]// 000000006640: D3E10040 15026954
	v_exp_f32_e32 v56, v56                                     // 000000006648: 7E704138
	v_mfma_f32_16x16x16_bf16 v[64:67], v[86:87], a[54:55], v[64:67]// 00000000664C: D3E10040 15026D56
	ds_read_b128 a[80:83], v12 offset:8704                     // 000000006654: DBFE2200 5000000C
	ds_read_b128 a[84:87], v12 offset:9216                     // 00000000665C: DBFE2400 5400000C
	ds_write_b32 v11, v40 offset:2176                          // 000000006664: D81A0880 0000280B
	v_mfma_f32_16x16x16_bf16 v[64:67], v[88:89], a[56:57], v[64:67]// 00000000666C: D3E10040 15027158
	v_exp_f32_e32 v57, v57                                     // 000000006674: 7E724139
	v_mfma_f32_16x16x16_bf16 v[64:67], v[90:91], a[58:59], v[64:67]// 000000006678: D3E10040 1502755A
	ds_read_b128 a[88:91], v12 offset:10880                    // 000000006680: DBFE2A80 5800000C
	ds_read_b128 a[92:95], v12 offset:11392                    // 000000006688: DBFE2C80 5C00000C
	ds_write_b32 v11, v41 offset:3232                          // 000000006690: D81A0CA0 0000290B
	v_mfma_f32_16x16x16_bf16 v[64:67], v[92:93], a[60:61], v[64:67]// 000000006698: D3E10040 1502795C
	v_exp_f32_e32 v58, v58                                     // 0000000066A0: 7E74413A
	v_mfma_f32_16x16x16_bf16 v[64:67], v[94:95], a[62:63], v[64:67]// 0000000066A4: D3E10040 15027D5E
	ds_read_b64 v[144:145], v19 offset:28416                   // 0000000066AC: D8EC6F00 90000013
	ds_read_b64 v[146:147], v19 offset:30464                   // 0000000066B4: D8EC7700 92000013
	ds_read_b64 v[148:149], v19 offset:32512                   // 0000000066BC: D8EC7F00 94000013
	ds_write_b32 v11, v42 offset:4352                          // 0000000066C4: D81A1100 00002A0B
	v_mfma_f32_16x16x16_bf16 v[64:67], v[96:97], a[64:65], v[64:67]// 0000000066CC: D3E10040 15028160
	v_exp_f32_e32 v59, v59                                     // 0000000066D4: 7E76413B
	v_mfma_f32_16x16x16_bf16 v[64:67], v[98:99], a[66:67], v[64:67]// 0000000066D8: D3E10040 15028562
	ds_read_b64 v[150:151], v19 offset:34560                   // 0000000066E0: D8EC8700 96000013
	ds_read_b64 v[152:153], v19 offset:36608                   // 0000000066E8: D8EC8F00 98000013
	ds_read_b64 v[154:155], v19 offset:38656                   // 0000000066F0: D8EC9700 9A000013
	ds_write_b32 v11, v43 offset:5408                          // 0000000066F8: D81A1520 00002B0B
	v_mfma_f32_16x16x16_bf16 v[64:67], v[100:101], a[68:69], v[64:67]// 000000006700: D3E10040 15028964
	v_perm_b32 v156, v57, v56, s64                             // 000000006708: D1ED009C 01027139
	v_mfma_f32_16x16x16_bf16 v[64:67], v[102:103], a[70:71], v[64:67]// 000000006710: D3E10040 15028D66
	v_perm_b32 v157, v59, v58, s64                             // 000000006718: D1ED009D 0102753B
	v_add_u32_e32 v7, s66, v7                                  // 000000006720: 680E0E42
	v_add_u32_e32 v8, s66, v8                                  // 000000006724: 68101042
	s_waitcnt lgkmcnt(0)                                       // 000000006728: BF8CC07F
	s_barrier                                                  // 00000000672C: BF8A0000
	v_mfma_f32_16x16x16_bf16 v[160:163], v[104:105], v[156:157], v[160:163]// 000000006730: D3E100A0 06833968
	v_subrev_f32_dpp v64, v158, v64 quad_perm:[0,0,0,0] row_mask:0xf bank_mask:0xf// 000000006738: 068080FA FF00009E
	v_subrev_f32_dpp v65, v158, v65 quad_perm:[1,1,1,1] row_mask:0xf bank_mask:0xf// 000000006740: 068282FA FF00559E
	buffer_atomic_add_f32 v144, v7, s[32:35], 0 offen          // 000000006748: E1341000 80089007
	v_mfma_f32_16x16x16_bf16 v[164:167], v[106:107], v[156:157], v[164:167]// 000000006750: D3E100A4 0693396A
	v_subrev_f32_dpp v66, v158, v66 quad_perm:[2,2,2,2] row_mask:0xf bank_mask:0xf// 000000006758: 068484FA FF00AA9E
	v_subrev_f32_dpp v67, v158, v67 quad_perm:[3,3,3,3] row_mask:0xf bank_mask:0xf// 000000006760: 068686FA FF00FF9E
	buffer_atomic_add_f32 v145, v8, s[32:35], 0 offen          // 000000006768: E1341000 80089108
	v_mfma_f32_16x16x16_bf16 v[168:171], v[108:109], v[156:157], v[168:171]// 000000006770: D3E100A8 06A3396C
	v_mul_f32_e32 v64, v56, v64                                // 000000006778: 0A808138
	v_mul_f32_e32 v65, v57, v65                                // 00000000677C: 0A828339
	buffer_atomic_add_f32 v146, v7, s[32:35], 0 offen offset:128// 000000006780: E1341080 80089207
	v_mfma_f32_16x16x16_bf16 v[172:175], v[110:111], v[156:157], v[172:175]// 000000006788: D3E100AC 06B3396E
	v_mul_f32_e32 v66, v58, v66                                // 000000006790: 0A84853A
	v_mul_f32_e32 v67, v59, v67                                // 000000006794: 0A86873B
	buffer_atomic_add_f32 v147, v8, s[32:35], 0 offen offset:128// 000000006798: E1341080 80089308
	v_mfma_f32_16x16x16_bf16 v[176:179], v[112:113], v[156:157], v[176:179]// 0000000067A0: D3E100B0 06C33970
	v_perm_b32 v64, v65, v64, s64                              // 0000000067A8: D1ED0040 01028141
	v_mfma_f32_16x16x16_bf16 v[180:183], v[114:115], v[156:157], v[180:183]// 0000000067B0: D3E100B4 06D33972
	v_perm_b32 v65, v67, v66, s64                              // 0000000067B8: D1ED0041 01028543
	v_mfma_f32_16x16x16_bf16 v[184:187], v[116:117], v[156:157], v[184:187]// 0000000067C0: D3E100B8 06E33974
	v_mov_b32_dpp v16, v64 quad_perm:[1,0,3,2] row_mask:0xf bank_mask:0xf// 0000000067C8: 7E2002FA FF00B140
	v_perm_b32 v56, v16, v64, v15                              // 0000000067D0: D1ED0038 043E8110
	buffer_atomic_add_f32 v148, v7, s[32:35], 0 offen offset:256// 0000000067D8: E1341100 80089407
	v_mfma_f32_16x16x16_bf16 v[188:191], v[118:119], v[156:157], v[188:191]// 0000000067E0: D3E100BC 06F33976
	v_mov_b32_dpp v16, v65 quad_perm:[1,0,3,2] row_mask:0xf bank_mask:0xf// 0000000067E8: 7E2002FA FF00B141
	v_perm_b32 v57, v16, v65, v15                              // 0000000067F0: D1ED0039 043E8310
	buffer_atomic_add_f32 v149, v8, s[32:35], 0 offen offset:256// 0000000067F8: E1341100 80089508
	v_mfma_f32_16x16x16_bf16 v[192:195], v[120:121], v[156:157], v[192:195]// 000000006800: D3E100C0 07033978
	ds_write_b32 v13, v68 offset:6528                          // 000000006808: D81A1980 0000440D
	ds_write_b32 v13, v69 offset:7584                          // 000000006810: D81A1DA0 0000450D
	v_mfma_f32_16x16x16_bf16 v[196:199], v[122:123], v[156:157], v[196:199]// 000000006818: D3E100C4 0713397A
	ds_write_b32 v18, v56 offset:26112                         // 000000006820: D81A6600 00003812
	ds_write_b32 v18, v57 offset:26656                         // 000000006828: D81A6820 00003912
	v_mfma_f32_16x16x16_bf16 v[200:203], v[124:125], v[156:157], v[200:203]// 000000006830: D3E100C8 0723397C
	ds_write_b32 v13, v70 offset:8704                          // 000000006838: D81A2200 0000460D
	ds_write_b32 v13, v71 offset:9760                          // 000000006840: D81A2620 0000470D
	v_mfma_f32_16x16x16_bf16 v[204:207], v[126:127], v[156:157], v[204:207]// 000000006848: D3E100CC 0733397E
	ds_write_b32 v13, v72 offset:10880                         // 000000006850: D81A2A80 0000480D
	ds_write_b32 v13, v73 offset:11936                         // 000000006858: D81A2EA0 0000490D
	s_barrier                                                  // 000000006860: BF8A0000
	v_mfma_f32_16x16x16_bf16 a[96:99], a[72:73], v[64:65], a[96:99]// 000000006864: D3E18060 0D828148
	ds_read_b32 v128, v21 offset:41216                         // 00000000686C: D86CA100 80000015
	ds_read_b32 v158, v21 offset:41472                         // 000000006874: D86CA200 9E000015
	v_mfma_f32_16x16x16_bf16 a[100:103], a[74:75], v[64:65], a[100:103]// 00000000687C: D3E18064 0D92814A
	buffer_atomic_add_f32 v150, v7, s[32:35], 0 offen offset:384// 000000006884: E1341180 80089607
	buffer_atomic_add_f32 v151, v8, s[32:35], 0 offen offset:384// 00000000688C: E1341180 80089708
	v_mfma_f32_16x16x16_bf16 a[104:107], a[76:77], v[64:65], a[104:107]// 000000006894: D3E18068 0DA2814C
	s_waitcnt lgkmcnt(6)                                       // 00000000689C: BF8CC67F
	s_barrier                                                  // 0000000068A0: BF8A0000
	v_mfma_f32_16x16x16_bf16 a[108:111], a[78:79], v[64:65], a[108:111]// 0000000068A4: D3E1806C 0DB2814E
	s_mov_b64 exec, s[88:89]                                   // 0000000068AC: BEFE0158
	buffer_atomic_add_f32 v152, v7, s[32:35], 0 offen offset:512// 0000000068B0: E1341200 80089807
	s_mov_b64 exec, s[84:85]                                   // 0000000068B8: BEFE0154
	v_mfma_f32_16x16x16_bf16 a[112:115], a[80:81], v[64:65], a[112:115]// 0000000068BC: D3E18070 0DC28150
	ds_read_b128 v[56:59], v17 offset:26112                    // 0000000068C4: D9FE6600 38000011
	v_mfma_f32_16x16x16_bf16 a[116:119], a[82:83], v[64:65], a[116:119]// 0000000068CC: D3E18074 0DD28152
	s_mov_b64 exec, s[88:89]                                   // 0000000068D4: BEFE0158
	buffer_atomic_add_f32 v153, v8, s[32:35], 0 offen offset:512// 0000000068D8: E1341200 80089908
	s_mov_b64 exec, s[84:85]                                   // 0000000068E0: BEFE0154
	v_mfma_f32_16x16x16_bf16 a[120:123], a[84:85], v[64:65], a[120:123]// 0000000068E4: D3E18078 0DE28154
	ds_read_b128 v[60:63], v17 offset:27264                    // 0000000068EC: D9FE6A80 3C000011
	v_mfma_f32_16x16x16_bf16 a[124:127], a[86:87], v[64:65], a[124:127]// 0000000068F4: D3E1807C 0DF28156
	s_mov_b64 exec, s[90:91]                                   // 0000000068FC: BEFE015A
	buffer_atomic_add_f32 v154, v7, s[32:35], 0 offen offset:640// 000000006900: E1341280 80089A07
	s_mov_b64 exec, s[84:85]                                   // 000000006908: BEFE0154
	v_mfma_f32_16x16x16_bf16 a[128:131], a[88:89], v[64:65], a[128:131]// 00000000690C: D3E18080 0E028158
	ds_write_b32 v13, v74 offset:19584                         // 000000006914: D81A4C80 00004A0D
	ds_write_b32 v13, v75 offset:20640                         // 00000000691C: D81A50A0 00004B0D
	v_mfma_f32_16x16x16_bf16 a[132:135], a[90:91], v[64:65], a[132:135]// 000000006924: D3E18084 0E12815A
	s_mov_b64 exec, s[90:91]                                   // 00000000692C: BEFE015A
	buffer_atomic_add_f32 v155, v8, s[32:35], 0 offen offset:640// 000000006930: E1341280 80089B08
	s_mov_b64 exec, s[84:85]                                   // 000000006938: BEFE0154
	v_mfma_f32_16x16x16_bf16 a[136:139], a[92:93], v[64:65], a[136:139]// 00000000693C: D3E18088 0E22815C
	ds_write_b32 v13, v76 offset:21760                         // 000000006944: D81A5500 00004C0D
	ds_write_b32 v13, v77 offset:22816                         // 00000000694C: D81A5920 00004D0D
	v_mfma_f32_16x16x16_bf16 a[140:143], a[94:95], v[64:65], a[140:143]// 000000006954: D3E1808C 0E32815E
	ds_write_b32 v13, v78 offset:23936                         // 00000000695C: D81A5D80 00004E0D
	ds_write_b32 v13, v79 offset:24992                         // 000000006964: D81A61A0 00004F0D
	s_waitcnt vmcnt(12) lgkmcnt(6)                             // 00000000696C: BF8C067C
	s_barrier                                                  // 000000006970: BF8A0000
	v_mfma_f32_16x16x16_bf16 v[132:135], v[56:57], a[24:25], 0 // 000000006974: D3E10084 12023138
	ds_read_b128 a[72:75], v10                                 // 00000000697C: DBFE0000 4800000A
	ds_read_b128 a[76:79], v10 offset:512                      // 000000006984: DBFE0200 4C00000A
	ds_read_b128 a[80:83], v10 offset:2176                     // 00000000698C: DBFE0880 5000000A
	buffer_load_dword v38, v1, s[8:11], 0 idxen                // 000000006994: E0502000 80022601
	buffer_load_dword v39, v2, s[8:11], 0 idxen                // 00000000699C: E0502000 80022702
	v_mfma_f32_16x16x16_bf16 v[132:135], v[58:59], a[30:31], v[132:135]// 0000000069A4: D3E10084 16123D3A
	v_mul_f32_e32 v128, s48, v128                              // 0000000069AC: 0B010030
	v_perm_b32 v68, v33, v32, s63                              // 0000000069B0: D1ED0044 00FE4121
	v_perm_b32 v69, v33, v32, s64                              // 0000000069B8: D1ED0045 01024121
	v_perm_b32 v70, v35, v34, s63                              // 0000000069C0: D1ED0046 00FE4523
	v_mfma_f32_16x16x16_bf16 v[132:135], v[60:61], a[36:37], v[132:135]// 0000000069C8: D3E10084 1612493C
	ds_read_b128 a[84:87], v10 offset:2688                     // 0000000069D0: DBFE0A80 5400000A
	ds_read_b128 a[88:91], v10 offset:4352                     // 0000000069D8: DBFE1100 5800000A
	ds_read_b128 a[92:95], v10 offset:4864                     // 0000000069E0: DBFE1300 5C00000A
	buffer_load_dword v40, v1, s[8:11], 0 idxen offset:128     // 0000000069E8: E0502080 80022801
	buffer_load_dword v41, v2, s[8:11], 0 idxen offset:128     // 0000000069F0: E0502080 80022902
	v_mfma_f32_16x16x16_bf16 v[132:135], v[62:63], a[42:43], v[132:135]// 0000000069F8: D3E10084 1612553E
	v_perm_b32 v71, v35, v34, s64                              // 000000006A00: D1ED0047 01024523
	v_perm_b32 v72, v37, v36, s63                              // 000000006A08: D1ED0048 00FE4925
	v_perm_b32 v73, v37, v36, s64                              // 000000006A10: D1ED0049 01024925
	v_mfma_f32_16x16x16_bf16 v[136:139], v[56:57], a[26:27], 0 // 000000006A18: D3E10088 12023538
	ds_read_b128 v[80:83], v10 offset:13056                    // 000000006A20: D9FE3300 5000000A
	ds_read_b128 v[84:87], v10 offset:13568                    // 000000006A28: D9FE3500 5400000A
	ds_read_b128 v[88:91], v10 offset:15232                    // 000000006A30: D9FE3B80 5800000A
	buffer_load_dword v50, v212, s[20:23], 0 idxen             // 000000006A38: E0502000 800532D4
	buffer_load_dword v51, v213, s[20:23], 0 idxen             // 000000006A40: E0502000 800533D5
	v_mfma_f32_16x16x16_bf16 v[136:139], v[58:59], a[32:33], v[136:139]// 000000006A48: D3E10088 1622413A
	v_perm_b32 v74, v45, v44, s63                              // 000000006A50: D1ED004A 00FE592D
	v_perm_b32 v75, v45, v44, s64                              // 000000006A58: D1ED004B 0102592D
	v_perm_b32 v76, v47, v46, s63                              // 000000006A60: D1ED004C 00FE5D2F
	v_mov_b32_dpp v131, v128 quad_perm:[3,3,3,3] row_mask:0xf bank_mask:0xf// 000000006A68: 7F0602FA FF00FF80
	v_mov_b32_dpp v130, v128 quad_perm:[2,2,2,2] row_mask:0xf bank_mask:0xf// 000000006A70: 7F0402FA FF00AA80
	v_mfma_f32_16x16x16_bf16 v[136:139], v[60:61], a[38:39], v[136:139]// 000000006A78: D3E10088 16224D3C
	ds_read_b128 v[92:95], v10 offset:15744                    // 000000006A80: D9FE3D80 5C00000A
	ds_read_b128 v[96:99], v10 offset:17408                    // 000000006A88: D9FE4400 6000000A
	ds_read_b128 v[100:103], v10 offset:17920                  // 000000006A90: D9FE4600 6400000A
	buffer_load_dword v52, v212, s[20:23], 0 idxen offset:128  // 000000006A98: E0502080 800534D4
	buffer_load_dword v53, v213, s[20:23], 0 idxen offset:128  // 000000006AA0: E0502080 800535D5
	v_mfma_f32_16x16x16_bf16 v[136:139], v[62:63], a[44:45], v[136:139]// 000000006AA8: D3E10088 1622593E
	v_perm_b32 v77, v47, v46, s64                              // 000000006AB0: D1ED004D 01025D2F
	v_perm_b32 v78, v49, v48, s63                              // 000000006AB8: D1ED004E 00FE6131
	v_perm_b32 v79, v49, v48, s64                              // 000000006AC0: D1ED004F 01026131
	v_mov_b32_dpp v129, v128 quad_perm:[1,1,1,1] row_mask:0xf bank_mask:0xf// 000000006AC8: 7F0202FA FF005580
	v_mov_b32_dpp v128, v128 quad_perm:[0,0,0,0] row_mask:0xf bank_mask:0xf// 000000006AD0: 7F0002FA FF000080
	v_mfma_f32_16x16x16_bf16 v[140:143], v[56:57], a[28:29], 0 // 000000006AD8: D3E1008C 12023938
	buffer_load_dword v9, s[24:27], 0 idxen lds                // 000000006AE0: E0512000 80060009
	v_mov_b32_e32 v42, 0                                       // 000000006AE8: 7E540280
	s_mov_b64 exec, s[78:79]                                   // 000000006AEC: BEFE014E
	buffer_load_dword v42, v1, s[8:11], 0 idxen offset:256     // 000000006AF0: E0502100 80022A01
	s_mov_b64 exec, s[84:85]                                   // 000000006AF8: BEFE0154
	v_mov_b32_e32 v43, 0                                       // 000000006AFC: 7E560280
	s_mov_b64 exec, s[78:79]                                   // 000000006B00: BEFE014E
	buffer_load_dword v43, v2, s[8:11], 0 idxen offset:256     // 000000006B04: E0502100 80022B02
	s_mov_b64 exec, s[84:85]                                   // 000000006B0C: BEFE0154
	v_mfma_f32_16x16x16_bf16 v[140:143], v[58:59], a[34:35], v[140:143]// 000000006B10: D3E1008C 1632453A
	s_add_u32 s60, 64, s59                                     // 000000006B18: 803C3BC0
	s_cmp_lt_u32 s60, s58                                      // 000000006B1C: BF0A3A3C
	s_cselect_b32 s68, s68, 0                                  // 000000006B20: 85448044
	s_cselect_b32 s101, s101, 0                                // 000000006B24: 85658065
	s_cselect_b32 s69, s69, 0                                  // 000000006B28: 85458045
	v_mfma_f32_16x16x16_bf16 v[140:143], v[60:61], a[40:41], v[140:143]// 000000006B2C: D3E1008C 1632513C
	v_mov_b32_e32 v54, 0                                       // 000000006B34: 7E6C0280
	s_mov_b64 exec, s[78:79]                                   // 000000006B38: BEFE014E
	buffer_load_dword v54, v212, s[20:23], 0 idxen offset:256  // 000000006B3C: E0502100 800536D4
	s_mov_b64 exec, s[84:85]                                   // 000000006B44: BEFE0154
	v_mov_b32_e32 v55, 0                                       // 000000006B48: 7E6E0280
	s_mov_b64 exec, s[78:79]                                   // 000000006B4C: BEFE014E
	buffer_load_dword v55, v213, s[20:23], 0 idxen offset:256  // 000000006B50: E0502100 800537D5
	s_mov_b64 exec, s[84:85]                                   // 000000006B58: BEFE0154
	v_add_u32_e32 v1, s68, v1                                  // 000000006B5C: 68020244
	v_add_u32_e32 v2, s68, v2                                  // 000000006B60: 68040444
	v_add_u32_e32 v212, s101, v212                             // 000000006B64: 69A9A865
	v_add_u32_e32 v213, s101, v213                             // 000000006B68: 69ABAA65
	s_mov_b32 m0, s76                                          // 000000006B6C: BEFC004C
	v_add_u32_e32 v9, s69, v9                                  // 000000006B70: 68121245
	v_mfma_f32_16x16x16_bf16 v[140:143], v[62:63], a[46:47], v[140:143]// 000000006B74: D3E1008C 16325D3E
	s_cmp_ge_u32 s59, 16                                       // 000000006B7C: BF09903B
	s_cselect_b32 s66, s67, s66                                // 000000006B80: 85424243
	s_addk_i32 s59, 0x10                                       // 000000006B84: B73B0010
	s_nop 0                                                    // 000000006B88: BF800000
	s_cmp_lt_i32 s59, s58                                      // 000000006B8C: BF043A3B
	s_cbranch_scc0 label_099C                                  // 000000006B90: BF84FE37
	s_waitcnt lgkmcnt(0)                                       // 000000006B94: BF8CC07F
	s_barrier                                                  // 000000006B98: BF8A0000
	v_mfma_f32_16x16x16_bf16 v[56:59], a[72:73], a[0:1], 0     // 000000006B9C: D3E10038 1A020148
	v_mul_f32_e32 v132, s47, v132                              // 000000006BA4: 0B09082F
	v_mul_f32_e32 v133, s47, v133                              // 000000006BA8: 0B0B0A2F
	v_mul_f32_e32 v134, s47, v134                              // 000000006BAC: 0B0D0C2F
	v_mul_f32_e32 v135, s47, v135                              // 000000006BB0: 0B0F0E2F
	v_mfma_f32_16x16x16_bf16 v[56:59], a[74:75], a[2:3], v[56:59]// 000000006BB4: D3E10038 1CE2054A
	ds_write_b32 v11, v44 offset:13056                         // 000000006BBC: D81A3300 00002C0B
	ds_write_b32 v11, v45 offset:14112                         // 000000006BC4: D81A3720 00002D0B
	ds_write_b32 v11, v46 offset:15232                         // 000000006BCC: D81A3B80 00002E0B
	v_mfma_f32_16x16x16_bf16 v[56:59], a[76:77], a[4:5], v[56:59]// 000000006BD4: D3E10038 1CE2094C
	v_mul_f32_e32 v136, s47, v136                              // 000000006BDC: 0B11102F
	v_mul_f32_e32 v137, s47, v137                              // 000000006BE0: 0B13122F
	v_mul_f32_e32 v138, s47, v138                              // 000000006BE4: 0B15142F
	v_mul_f32_e32 v139, s47, v139                              // 000000006BE8: 0B17162F
	v_mfma_f32_16x16x16_bf16 v[56:59], a[78:79], a[6:7], v[56:59]// 000000006BEC: D3E10038 1CE20D4E
	ds_write_b32 v11, v47 offset:16288                         // 000000006BF4: D81A3FA0 00002F0B
	ds_write_b32 v11, v48 offset:17408                         // 000000006BFC: D81A4400 0000300B
	ds_write_b32 v11, v49 offset:18464                         // 000000006C04: D81A4820 0000310B
	v_mfma_f32_16x16x16_bf16 v[56:59], a[80:81], a[8:9], v[56:59]// 000000006C0C: D3E10038 1CE21150
	v_mul_f32_e32 v140, s47, v140                              // 000000006C14: 0B19182F
	v_mul_f32_e32 v141, s47, v141                              // 000000006C18: 0B1B1A2F
	v_mul_f32_e32 v142, s47, v142                              // 000000006C1C: 0B1D1C2F
	v_mul_f32_e32 v143, s47, v143                              // 000000006C20: 0B1F1E2F
	v_mfma_f32_16x16x16_bf16 v[56:59], a[82:83], a[10:11], v[56:59]// 000000006C24: D3E10038 1CE21552
	ds_write_b64 v20, v[132:133] offset:28416                  // 000000006C2C: D89A6F00 00008414
	ds_write_b64 v20, v[134:135] offset:28928                  // 000000006C34: D89A7100 00008614
	v_mfma_f32_16x16x16_bf16 v[56:59], a[84:85], a[12:13], v[56:59]// 000000006C3C: D3E10038 1CE21954
	ds_write_b64 v20, v[136:137] offset:29440                  // 000000006C44: D89A7300 00008814
	ds_write_b64 v20, v[138:139] offset:29952                  // 000000006C4C: D89A7500 00008A14
	v_mfma_f32_16x16x16_bf16 v[56:59], a[86:87], a[14:15], v[56:59]// 000000006C54: D3E10038 1CE21D56
	ds_write_b64 v20, v[140:141] offset:30464                  // 000000006C5C: D89A7700 00008C14
	ds_write_b64 v20, v[142:143] offset:30976                  // 000000006C64: D89A7900 00008E14
	v_mfma_f32_16x16x16_bf16 v[56:59], a[88:89], a[16:17], v[56:59]// 000000006C6C: D3E10038 1CE22158
	ds_read_b128 v[104:107], v12 offset:19584                  // 000000006C74: D9FE4C80 6800000C
	v_mfma_f32_16x16x16_bf16 v[56:59], a[90:91], a[18:19], v[56:59]// 000000006C7C: D3E10038 1CE2255A
	ds_read_b128 v[108:111], v12 offset:20096                  // 000000006C84: D9FE4E80 6C00000C
	v_mfma_f32_16x16x16_bf16 v[56:59], a[92:93], a[20:21], v[56:59]// 000000006C8C: D3E10038 1CE2295C
	ds_read_b128 v[112:115], v12 offset:21760                  // 000000006C94: D9FE5500 7000000C
	ds_read_b128 v[116:119], v12 offset:22272                  // 000000006C9C: D9FE5700 7400000C
	v_mfma_f32_16x16x16_bf16 v[56:59], a[94:95], a[22:23], v[56:59]// 000000006CA4: D3E10038 1CE22D5E
	ds_read_b128 v[120:123], v12 offset:23936                  // 000000006CAC: D9FE5D80 7800000C
	ds_read_b128 v[124:127], v12 offset:24448                  // 000000006CB4: D9FE5F80 7C00000C
	s_cmp_lt_i32 s81, 64                                       // 000000006CBC: BF04C051
	s_cbranch_scc0 label_0BC0                                  // 000000006CC0: BF84000F
	v_and_b32_e32 v28, 15, v0                                  // 000000006CC4: 2638008F
	v_mul_i32_i24_e64 v29, s46, 16                             // 000000006CC8: D106001D 0001202E
	v_add_u32_e32 v28, v28, v29                                // 000000006CD0: 68383B1C
	v_cmp_lt_u32_e64 s[60:61], v28, s81                        // 000000006CD4: D0C9003C 0000A31C
	s_nop 1                                                    // 000000006CDC: BF800001
	v_cndmask_b32_e64 v56, v159, v56, s[60:61]                 // 000000006CE0: D1000038 00F2719F
	v_cndmask_b32_e64 v57, v159, v57, s[60:61]                 // 000000006CE8: D1000039 00F2739F
	v_cndmask_b32_e64 v58, v159, v58, s[60:61]                 // 000000006CF0: D100003A 00F2759F
	v_cndmask_b32_e64 v59, v159, v59, s[60:61]                 // 000000006CF8: D100003B 00F2779F

0000000000006d00 <label_0BC0>:
	s_waitcnt lgkmcnt(6)                                       // 000000006D00: BF8CC67F
	s_barrier                                                  // 000000006D04: BF8A0000
	v_mfma_f32_16x16x16_bf16 v[64:67], v[80:81], a[48:49], 0   // 000000006D08: D3E10040 12026150
	v_fma_f32 v56, v56, s57, -v128                             // 000000006D10: D1CB0038 86007338
	v_fma_f32 v57, v57, s57, -v129                             // 000000006D18: D1CB0039 86047339
	v_fma_f32 v58, v58, s57, -v130                             // 000000006D20: D1CB003A 8608733A
	v_fma_f32 v59, v59, s57, -v131                             // 000000006D28: D1CB003B 860C733B
	v_mfma_f32_16x16x16_bf16 v[64:67], v[82:83], a[50:51], v[64:67]// 000000006D30: D3E10040 15026552
	ds_read_b128 a[72:75], v12 offset:6528                     // 000000006D38: DBFE1980 4800000C
	ds_read_b128 a[76:79], v12 offset:7040                     // 000000006D40: DBFE1B80 4C00000C
	ds_write_b32 v11, v32                                      // 000000006D48: D81A0000 0000200B
	ds_write_b32 v11, v33 offset:1056                          // 000000006D50: D81A0420 0000210B
	v_mfma_f32_16x16x16_bf16 v[64:67], v[84:85], a[52:53], v[64:67]// 000000006D58: D3E10040 15026954
	v_exp_f32_e32 v56, v56                                     // 000000006D60: 7E704138
	v_mfma_f32_16x16x16_bf16 v[64:67], v[86:87], a[54:55], v[64:67]// 000000006D64: D3E10040 15026D56
	ds_read_b128 a[80:83], v12 offset:8704                     // 000000006D6C: DBFE2200 5000000C
	ds_read_b128 a[84:87], v12 offset:9216                     // 000000006D74: DBFE2400 5400000C
	ds_write_b32 v11, v34 offset:2176                          // 000000006D7C: D81A0880 0000220B
	v_mfma_f32_16x16x16_bf16 v[64:67], v[88:89], a[56:57], v[64:67]// 000000006D84: D3E10040 15027158
	v_exp_f32_e32 v57, v57                                     // 000000006D8C: 7E724139
	v_mfma_f32_16x16x16_bf16 v[64:67], v[90:91], a[58:59], v[64:67]// 000000006D90: D3E10040 1502755A
	ds_read_b128 a[88:91], v12 offset:10880                    // 000000006D98: DBFE2A80 5800000C
	ds_read_b128 a[92:95], v12 offset:11392                    // 000000006DA0: DBFE2C80 5C00000C
	ds_write_b32 v11, v35 offset:3232                          // 000000006DA8: D81A0CA0 0000230B
	v_mfma_f32_16x16x16_bf16 v[64:67], v[92:93], a[60:61], v[64:67]// 000000006DB0: D3E10040 1502795C
	v_exp_f32_e32 v58, v58                                     // 000000006DB8: 7E74413A
	v_mfma_f32_16x16x16_bf16 v[64:67], v[94:95], a[62:63], v[64:67]// 000000006DBC: D3E10040 15027D5E
	ds_read_b64 v[144:145], v19 offset:28416                   // 000000006DC4: D8EC6F00 90000013
	ds_read_b64 v[146:147], v19 offset:30464                   // 000000006DCC: D8EC7700 92000013
	ds_read_b64 v[148:149], v19 offset:32512                   // 000000006DD4: D8EC7F00 94000013
	ds_write_b32 v11, v36 offset:4352                          // 000000006DDC: D81A1100 0000240B
	v_mfma_f32_16x16x16_bf16 v[64:67], v[96:97], a[64:65], v[64:67]// 000000006DE4: D3E10040 15028160
	v_exp_f32_e32 v59, v59                                     // 000000006DEC: 7E76413B
	v_mfma_f32_16x16x16_bf16 v[64:67], v[98:99], a[66:67], v[64:67]// 000000006DF0: D3E10040 15028562
	ds_read_b64 v[150:151], v19 offset:34560                   // 000000006DF8: D8EC8700 96000013
	ds_read_b64 v[152:153], v19 offset:36608                   // 000000006E00: D8EC8F00 98000013
	ds_read_b64 v[154:155], v19 offset:38656                   // 000000006E08: D8EC9700 9A000013
	ds_write_b32 v11, v37 offset:5408                          // 000000006E10: D81A1520 0000250B
	v_mfma_f32_16x16x16_bf16 v[64:67], v[100:101], a[68:69], v[64:67]// 000000006E18: D3E10040 15028964
	v_perm_b32 v156, v57, v56, s64                             // 000000006E20: D1ED009C 01027139
	v_mfma_f32_16x16x16_bf16 v[64:67], v[102:103], a[70:71], v[64:67]// 000000006E28: D3E10040 15028D66
	v_perm_b32 v157, v59, v58, s64                             // 000000006E30: D1ED009D 0102753B
	v_add_u32_e32 v7, s66, v7                                  // 000000006E38: 680E0E42
	v_add_u32_e32 v8, s66, v8                                  // 000000006E3C: 68101042
	s_waitcnt lgkmcnt(0)                                       // 000000006E40: BF8CC07F
	s_barrier                                                  // 000000006E44: BF8A0000
	v_mfma_f32_16x16x16_bf16 v[160:163], v[104:105], v[156:157], v[160:163]// 000000006E48: D3E100A0 06833968
	v_subrev_f32_dpp v64, v158, v64 quad_perm:[0,0,0,0] row_mask:0xf bank_mask:0xf// 000000006E50: 068080FA FF00009E
	v_subrev_f32_dpp v65, v158, v65 quad_perm:[1,1,1,1] row_mask:0xf bank_mask:0xf// 000000006E58: 068282FA FF00559E
	buffer_atomic_add_f32 v144, v7, s[32:35], 0 offen          // 000000006E60: E1341000 80089007
	v_mfma_f32_16x16x16_bf16 v[164:167], v[106:107], v[156:157], v[164:167]// 000000006E68: D3E100A4 0693396A
	v_subrev_f32_dpp v66, v158, v66 quad_perm:[2,2,2,2] row_mask:0xf bank_mask:0xf// 000000006E70: 068484FA FF00AA9E
	v_subrev_f32_dpp v67, v158, v67 quad_perm:[3,3,3,3] row_mask:0xf bank_mask:0xf// 000000006E78: 068686FA FF00FF9E
	buffer_atomic_add_f32 v145, v8, s[32:35], 0 offen          // 000000006E80: E1341000 80089108
	v_mfma_f32_16x16x16_bf16 v[168:171], v[108:109], v[156:157], v[168:171]// 000000006E88: D3E100A8 06A3396C
	v_mul_f32_e32 v64, v56, v64                                // 000000006E90: 0A808138
	v_mul_f32_e32 v65, v57, v65                                // 000000006E94: 0A828339
	buffer_atomic_add_f32 v146, v7, s[32:35], 0 offen offset:128// 000000006E98: E1341080 80089207
	v_mfma_f32_16x16x16_bf16 v[172:175], v[110:111], v[156:157], v[172:175]// 000000006EA0: D3E100AC 06B3396E
	v_mul_f32_e32 v66, v58, v66                                // 000000006EA8: 0A84853A
	v_mul_f32_e32 v67, v59, v67                                // 000000006EAC: 0A86873B
	buffer_atomic_add_f32 v147, v8, s[32:35], 0 offen offset:128// 000000006EB0: E1341080 80089308
	v_mfma_f32_16x16x16_bf16 v[176:179], v[112:113], v[156:157], v[176:179]// 000000006EB8: D3E100B0 06C33970
	v_perm_b32 v64, v65, v64, s64                              // 000000006EC0: D1ED0040 01028141
	v_mfma_f32_16x16x16_bf16 v[180:183], v[114:115], v[156:157], v[180:183]// 000000006EC8: D3E100B4 06D33972
	v_perm_b32 v65, v67, v66, s64                              // 000000006ED0: D1ED0041 01028543
	v_mfma_f32_16x16x16_bf16 v[184:187], v[116:117], v[156:157], v[184:187]// 000000006ED8: D3E100B8 06E33974
	v_mov_b32_dpp v16, v64 quad_perm:[1,0,3,2] row_mask:0xf bank_mask:0xf// 000000006EE0: 7E2002FA FF00B140
	v_perm_b32 v56, v16, v64, v15                              // 000000006EE8: D1ED0038 043E8110
	buffer_atomic_add_f32 v148, v7, s[32:35], 0 offen offset:256// 000000006EF0: E1341100 80089407
	v_mfma_f32_16x16x16_bf16 v[188:191], v[118:119], v[156:157], v[188:191]// 000000006EF8: D3E100BC 06F33976
	v_mov_b32_dpp v16, v65 quad_perm:[1,0,3,2] row_mask:0xf bank_mask:0xf// 000000006F00: 7E2002FA FF00B141
	v_perm_b32 v57, v16, v65, v15                              // 000000006F08: D1ED0039 043E8310
	buffer_atomic_add_f32 v149, v8, s[32:35], 0 offen offset:256// 000000006F10: E1341100 80089508
	v_mfma_f32_16x16x16_bf16 v[192:195], v[120:121], v[156:157], v[192:195]// 000000006F18: D3E100C0 07033978
	ds_write_b32 v13, v68 offset:6528                          // 000000006F20: D81A1980 0000440D
	ds_write_b32 v13, v69 offset:7584                          // 000000006F28: D81A1DA0 0000450D
	v_mfma_f32_16x16x16_bf16 v[196:199], v[122:123], v[156:157], v[196:199]// 000000006F30: D3E100C4 0713397A
	ds_write_b32 v18, v56 offset:26112                         // 000000006F38: D81A6600 00003812
	ds_write_b32 v18, v57 offset:26656                         // 000000006F40: D81A6820 00003912
	v_mfma_f32_16x16x16_bf16 v[200:203], v[124:125], v[156:157], v[200:203]// 000000006F48: D3E100C8 0723397C
	ds_write_b32 v13, v70 offset:8704                          // 000000006F50: D81A2200 0000460D
	ds_write_b32 v13, v71 offset:9760                          // 000000006F58: D81A2620 0000470D
	v_mfma_f32_16x16x16_bf16 v[204:207], v[126:127], v[156:157], v[204:207]// 000000006F60: D3E100CC 0733397E
	ds_write_b32 v13, v72 offset:10880                         // 000000006F68: D81A2A80 0000480D
	ds_write_b32 v13, v73 offset:11936                         // 000000006F70: D81A2EA0 0000490D
	s_barrier                                                  // 000000006F78: BF8A0000
	v_mfma_f32_16x16x16_bf16 a[96:99], a[72:73], v[64:65], a[96:99]// 000000006F7C: D3E18060 0D828148
	ds_read_b32 v128, v21 offset:40704                         // 000000006F84: D86C9F00 80000015
	ds_read_b32 v158, v21 offset:40960                         // 000000006F8C: D86CA000 9E000015
	v_mfma_f32_16x16x16_bf16 a[100:103], a[74:75], v[64:65], a[100:103]// 000000006F94: D3E18064 0D92814A
	buffer_atomic_add_f32 v150, v7, s[32:35], 0 offen offset:384// 000000006F9C: E1341180 80089607
	buffer_atomic_add_f32 v151, v8, s[32:35], 0 offen offset:384// 000000006FA4: E1341180 80089708
	v_mfma_f32_16x16x16_bf16 a[104:107], a[76:77], v[64:65], a[104:107]// 000000006FAC: D3E18068 0DA2814C
	s_waitcnt lgkmcnt(6)                                       // 000000006FB4: BF8CC67F
	s_barrier                                                  // 000000006FB8: BF8A0000
	v_mfma_f32_16x16x16_bf16 a[108:111], a[78:79], v[64:65], a[108:111]// 000000006FBC: D3E1806C 0DB2814E
	s_mov_b64 exec, s[88:89]                                   // 000000006FC4: BEFE0158
	buffer_atomic_add_f32 v152, v7, s[32:35], 0 offen offset:512// 000000006FC8: E1341200 80089807
	s_mov_b64 exec, s[84:85]                                   // 000000006FD0: BEFE0154
	v_mfma_f32_16x16x16_bf16 a[112:115], a[80:81], v[64:65], a[112:115]// 000000006FD4: D3E18070 0DC28150
	ds_read_b128 v[56:59], v17 offset:26112                    // 000000006FDC: D9FE6600 38000011
	v_mfma_f32_16x16x16_bf16 a[116:119], a[82:83], v[64:65], a[116:119]// 000000006FE4: D3E18074 0DD28152
	s_mov_b64 exec, s[88:89]                                   // 000000006FEC: BEFE0158
	buffer_atomic_add_f32 v153, v8, s[32:35], 0 offen offset:512// 000000006FF0: E1341200 80089908
	s_mov_b64 exec, s[84:85]                                   // 000000006FF8: BEFE0154
	v_mfma_f32_16x16x16_bf16 a[120:123], a[84:85], v[64:65], a[120:123]// 000000006FFC: D3E18078 0DE28154
	ds_read_b128 v[60:63], v17 offset:27264                    // 000000007004: D9FE6A80 3C000011
	v_mfma_f32_16x16x16_bf16 a[124:127], a[86:87], v[64:65], a[124:127]// 00000000700C: D3E1807C 0DF28156
	s_mov_b64 exec, s[90:91]                                   // 000000007014: BEFE015A
	buffer_atomic_add_f32 v154, v7, s[32:35], 0 offen offset:640// 000000007018: E1341280 80089A07
	s_mov_b64 exec, s[84:85]                                   // 000000007020: BEFE0154
	v_mfma_f32_16x16x16_bf16 a[128:131], a[88:89], v[64:65], a[128:131]// 000000007024: D3E18080 0E028158
	ds_write_b32 v13, v74 offset:19584                         // 00000000702C: D81A4C80 00004A0D
	ds_write_b32 v13, v75 offset:20640                         // 000000007034: D81A50A0 00004B0D
	v_mfma_f32_16x16x16_bf16 a[132:135], a[90:91], v[64:65], a[132:135]// 00000000703C: D3E18084 0E12815A
	s_mov_b64 exec, s[90:91]                                   // 000000007044: BEFE015A
	buffer_atomic_add_f32 v155, v8, s[32:35], 0 offen offset:640// 000000007048: E1341280 80089B08
	s_mov_b64 exec, s[84:85]                                   // 000000007050: BEFE0154
	v_mfma_f32_16x16x16_bf16 a[136:139], a[92:93], v[64:65], a[136:139]// 000000007054: D3E18088 0E22815C
	ds_write_b32 v13, v76 offset:21760                         // 00000000705C: D81A5500 00004C0D
	ds_write_b32 v13, v77 offset:22816                         // 000000007064: D81A5920 00004D0D
	v_mfma_f32_16x16x16_bf16 a[140:143], a[94:95], v[64:65], a[140:143]// 00000000706C: D3E1808C 0E32815E
	ds_write_b32 v13, v78 offset:23936                         // 000000007074: D81A5D80 00004E0D
	ds_write_b32 v13, v79 offset:24992                         // 00000000707C: D81A61A0 00004F0D
	s_waitcnt vmcnt(12) lgkmcnt(6)                             // 000000007084: BF8C067C
	s_barrier                                                  // 000000007088: BF8A0000
	v_mfma_f32_16x16x16_bf16 v[132:135], v[56:57], a[24:25], 0 // 00000000708C: D3E10084 12023138
	ds_read_b128 a[72:75], v10                                 // 000000007094: DBFE0000 4800000A
	ds_read_b128 a[76:79], v10 offset:512                      // 00000000709C: DBFE0200 4C00000A
	ds_read_b128 a[80:83], v10 offset:2176                     // 0000000070A4: DBFE0880 5000000A
	buffer_load_dword v32, v1, s[8:11], 0 idxen                // 0000000070AC: E0502000 80022001
	buffer_load_dword v33, v2, s[8:11], 0 idxen                // 0000000070B4: E0502000 80022102
	v_mfma_f32_16x16x16_bf16 v[132:135], v[58:59], a[30:31], v[132:135]// 0000000070BC: D3E10084 16123D3A
	v_mul_f32_e32 v128, s48, v128                              // 0000000070C4: 0B010030
	v_perm_b32 v68, v39, v38, s63                              // 0000000070C8: D1ED0044 00FE4D27
	v_perm_b32 v69, v39, v38, s64                              // 0000000070D0: D1ED0045 01024D27
	v_perm_b32 v70, v41, v40, s63                              // 0000000070D8: D1ED0046 00FE5129
	v_mfma_f32_16x16x16_bf16 v[132:135], v[60:61], a[36:37], v[132:135]// 0000000070E0: D3E10084 1612493C
	ds_read_b128 a[84:87], v10 offset:2688                     // 0000000070E8: DBFE0A80 5400000A
	ds_read_b128 a[88:91], v10 offset:4352                     // 0000000070F0: DBFE1100 5800000A
	ds_read_b128 a[92:95], v10 offset:4864                     // 0000000070F8: DBFE1300 5C00000A
	buffer_load_dword v34, v1, s[8:11], 0 idxen offset:128     // 000000007100: E0502080 80022201
	buffer_load_dword v35, v2, s[8:11], 0 idxen offset:128     // 000000007108: E0502080 80022302
	v_mfma_f32_16x16x16_bf16 v[132:135], v[62:63], a[42:43], v[132:135]// 000000007110: D3E10084 1612553E
	v_perm_b32 v71, v41, v40, s64                              // 000000007118: D1ED0047 01025129
	v_perm_b32 v72, v43, v42, s63                              // 000000007120: D1ED0048 00FE552B
	v_perm_b32 v73, v43, v42, s64                              // 000000007128: D1ED0049 0102552B
	v_mfma_f32_16x16x16_bf16 v[136:139], v[56:57], a[26:27], 0 // 000000007130: D3E10088 12023538
	ds_read_b128 v[80:83], v10 offset:13056                    // 000000007138: D9FE3300 5000000A
	ds_read_b128 v[84:87], v10 offset:13568                    // 000000007140: D9FE3500 5400000A
	ds_read_b128 v[88:91], v10 offset:15232                    // 000000007148: D9FE3B80 5800000A
	buffer_load_dword v44, v212, s[20:23], 0 idxen             // 000000007150: E0502000 80052CD4
	buffer_load_dword v45, v213, s[20:23], 0 idxen             // 000000007158: E0502000 80052DD5
	v_mfma_f32_16x16x16_bf16 v[136:139], v[58:59], a[32:33], v[136:139]// 000000007160: D3E10088 1622413A
	v_perm_b32 v74, v51, v50, s63                              // 000000007168: D1ED004A 00FE6533
	v_perm_b32 v75, v51, v50, s64                              // 000000007170: D1ED004B 01026533
	v_perm_b32 v76, v53, v52, s63                              // 000000007178: D1ED004C 00FE6935
	v_mov_b32_dpp v131, v128 quad_perm:[3,3,3,3] row_mask:0xf bank_mask:0xf// 000000007180: 7F0602FA FF00FF80
	v_mov_b32_dpp v130, v128 quad_perm:[2,2,2,2] row_mask:0xf bank_mask:0xf// 000000007188: 7F0402FA FF00AA80
	v_mfma_f32_16x16x16_bf16 v[136:139], v[60:61], a[38:39], v[136:139]// 000000007190: D3E10088 16224D3C
	ds_read_b128 v[92:95], v10 offset:15744                    // 000000007198: D9FE3D80 5C00000A
	ds_read_b128 v[96:99], v10 offset:17408                    // 0000000071A0: D9FE4400 6000000A
	ds_read_b128 v[100:103], v10 offset:17920                  // 0000000071A8: D9FE4600 6400000A
	buffer_load_dword v46, v212, s[20:23], 0 idxen offset:128  // 0000000071B0: E0502080 80052ED4
	buffer_load_dword v47, v213, s[20:23], 0 idxen offset:128  // 0000000071B8: E0502080 80052FD5
	v_mfma_f32_16x16x16_bf16 v[136:139], v[62:63], a[44:45], v[136:139]// 0000000071C0: D3E10088 1622593E
	v_perm_b32 v77, v53, v52, s64                              // 0000000071C8: D1ED004D 01026935
	v_perm_b32 v78, v55, v54, s63                              // 0000000071D0: D1ED004E 00FE6D37
	v_perm_b32 v79, v55, v54, s64                              // 0000000071D8: D1ED004F 01026D37
	v_mov_b32_dpp v129, v128 quad_perm:[1,1,1,1] row_mask:0xf bank_mask:0xf// 0000000071E0: 7F0202FA FF005580
	v_mov_b32_dpp v128, v128 quad_perm:[0,0,0,0] row_mask:0xf bank_mask:0xf// 0000000071E8: 7F0002FA FF000080
	v_mfma_f32_16x16x16_bf16 v[140:143], v[56:57], a[28:29], 0 // 0000000071F0: D3E1008C 12023938
	buffer_load_dword v9, s[24:27], 0 idxen lds                // 0000000071F8: E0512000 80060009
	v_mov_b32_e32 v36, 0                                       // 000000007200: 7E480280
	s_mov_b64 exec, s[78:79]                                   // 000000007204: BEFE014E
	buffer_load_dword v36, v1, s[8:11], 0 idxen offset:256     // 000000007208: E0502100 80022401
	s_mov_b64 exec, s[84:85]                                   // 000000007210: BEFE0154
	v_mov_b32_e32 v37, 0                                       // 000000007214: 7E4A0280
	s_mov_b64 exec, s[78:79]                                   // 000000007218: BEFE014E
	buffer_load_dword v37, v2, s[8:11], 0 idxen offset:256     // 00000000721C: E0502100 80022502
	s_mov_b64 exec, s[84:85]                                   // 000000007224: BEFE0154
	v_mfma_f32_16x16x16_bf16 v[140:143], v[58:59], a[34:35], v[140:143]// 000000007228: D3E1008C 1632453A
	s_add_u32 s60, 64, s59                                     // 000000007230: 803C3BC0
	s_cmp_lt_u32 s60, s58                                      // 000000007234: BF0A3A3C
	s_cselect_b32 s68, s68, 0                                  // 000000007238: 85448044
	s_cselect_b32 s101, s101, 0                                // 00000000723C: 85658065
	s_cselect_b32 s69, s69, 0                                  // 000000007240: 85458045
	v_mfma_f32_16x16x16_bf16 v[140:143], v[60:61], a[40:41], v[140:143]// 000000007244: D3E1008C 1632513C
	v_mov_b32_e32 v48, 0                                       // 00000000724C: 7E600280
	s_mov_b64 exec, s[78:79]                                   // 000000007250: BEFE014E
	buffer_load_dword v48, v212, s[20:23], 0 idxen offset:256  // 000000007254: E0502100 800530D4
	s_mov_b64 exec, s[84:85]                                   // 00000000725C: BEFE0154
	v_mov_b32_e32 v49, 0                                       // 000000007260: 7E620280
	s_mov_b64 exec, s[78:79]                                   // 000000007264: BEFE014E
	buffer_load_dword v49, v213, s[20:23], 0 idxen offset:256  // 000000007268: E0502100 800531D5
	s_mov_b64 exec, s[84:85]                                   // 000000007270: BEFE0154
	v_add_u32_e32 v1, s68, v1                                  // 000000007274: 68020244
	v_add_u32_e32 v2, s68, v2                                  // 000000007278: 68040444
	v_add_u32_e32 v212, s101, v212                             // 00000000727C: 69A9A865
	v_add_u32_e32 v213, s101, v213                             // 000000007280: 69ABAA65
	s_mov_b32 m0, s77                                          // 000000007284: BEFC004D
	v_add_u32_e32 v9, s69, v9                                  // 000000007288: 68121245
	v_mfma_f32_16x16x16_bf16 v[140:143], v[62:63], a[46:47], v[140:143]// 00000000728C: D3E1008C 16325D3E
	s_cmp_ge_u32 s59, 16                                       // 000000007294: BF09903B
	s_cselect_b32 s66, s67, s66                                // 000000007298: 85424243
	s_addk_i32 s59, 0x10                                       // 00000000729C: B73B0010
	s_nop 0                                                    // 0000000072A0: BF800000
	s_cmp_lt_i32 s59, s58                                      // 0000000072A4: BF043A3B
	s_cbranch_scc0 label_099C                                  // 0000000072A8: BF84FC71
	s_branch label_099F                                        // 0000000072AC: BF82FC73

00000000000072b0 <label_0D2C>:
	v_add_u32_e32 v7, s66, v7                                  // 0000000072B0: 680E0E42
	v_add_u32_e32 v8, s66, v8                                  // 0000000072B4: 68101042
	v_lshrrev_b32_e32 v28, 5, v0                               // 0000000072B8: 20380085
	v_mul_i32_i24_e32 v25, 0x44, v28                           // 0000000072BC: 0C3238FF 00000044
	v_and_b32_e32 v28, 31, v0                                  // 0000000072C4: 2638009F
	v_mul_i32_i24_e32 v29, 2, v28                              // 0000000072C8: 0C3A3882
	v_add_u32_e32 v25, v29, v25                                // 0000000072CC: 6832331D
	s_mul_i32 s60, s46, 0x660                                  // 0000000072D0: 923CFF2E 00000660
	v_add_u32_e32 v25, s60, v25                                // 0000000072D8: 6832323C
	v_lshlrev_b32_e32 v25, 2, v25                              // 0000000072DC: 24323282
	v_mul_f32_e32 v132, s47, v132                              // 0000000072E0: 0B09082F
	v_mul_f32_e32 v133, s47, v133                              // 0000000072E4: 0B0B0A2F
	v_mul_f32_e32 v134, s47, v134                              // 0000000072E8: 0B0D0C2F
	v_mul_f32_e32 v135, s47, v135                              // 0000000072EC: 0B0F0E2F
	v_mul_f32_e32 v136, s47, v136                              // 0000000072F0: 0B11102F
	v_mul_f32_e32 v137, s47, v137                              // 0000000072F4: 0B13122F
	v_mul_f32_e32 v138, s47, v138                              // 0000000072F8: 0B15142F
	v_mul_f32_e32 v139, s47, v139                              // 0000000072FC: 0B17162F
	v_mul_f32_e32 v140, s47, v140                              // 000000007300: 0B19182F
	v_mul_f32_e32 v141, s47, v141                              // 000000007304: 0B1B1A2F
	v_mul_f32_e32 v142, s47, v142                              // 000000007308: 0B1D1C2F
	v_mul_f32_e32 v143, s47, v143                              // 00000000730C: 0B1F1E2F
	ds_write_b64 v20, v[132:133] offset:28416                  // 000000007310: D89A6F00 00008414
	ds_write_b64 v20, v[134:135] offset:28928                  // 000000007318: D89A7100 00008614
	ds_write_b64 v20, v[136:137] offset:29440                  // 000000007320: D89A7300 00008814
	ds_write_b64 v20, v[138:139] offset:29952                  // 000000007328: D89A7500 00008A14
	ds_write_b64 v20, v[140:141] offset:30464                  // 000000007330: D89A7700 00008C14
	ds_write_b64 v20, v[142:143] offset:30976                  // 000000007338: D89A7900 00008E14
	s_waitcnt lgkmcnt(0)                                       // 000000007340: BF8CC07F
	s_barrier                                                  // 000000007344: BF8A0000
	ds_read_b64 v[144:145], v19 offset:28416                   // 000000007348: D8EC6F00 90000013
	ds_read_b64 v[146:147], v19 offset:30464                   // 000000007350: D8EC7700 92000013
	ds_read_b64 v[148:149], v19 offset:32512                   // 000000007358: D8EC7F00 94000013
	ds_read_b64 v[150:151], v19 offset:34560                   // 000000007360: D8EC8700 96000013
	ds_read_b64 v[152:153], v19 offset:36608                   // 000000007368: D8EC8F00 98000013
	ds_read_b64 v[154:155], v19 offset:38656                   // 000000007370: D8EC9700 9A000013
	s_waitcnt lgkmcnt(0)                                       // 000000007378: BF8CC07F
	s_barrier                                                  // 00000000737C: BF8A0000
	buffer_atomic_add_f32 v144, v7, s[32:35], 0 offen          // 000000007380: E1341000 80089007
	buffer_atomic_add_f32 v145, v8, s[32:35], 0 offen          // 000000007388: E1341000 80089108
	buffer_atomic_add_f32 v146, v7, s[32:35], 0 offen offset:128// 000000007390: E1341080 80089207
	buffer_atomic_add_f32 v147, v8, s[32:35], 0 offen offset:128// 000000007398: E1341080 80089308
	buffer_atomic_add_f32 v148, v7, s[32:35], 0 offen offset:256// 0000000073A0: E1341100 80089407
	buffer_atomic_add_f32 v149, v8, s[32:35], 0 offen offset:256// 0000000073A8: E1341100 80089508
	buffer_atomic_add_f32 v150, v7, s[32:35], 0 offen offset:384// 0000000073B0: E1341180 80089607
	buffer_atomic_add_f32 v151, v8, s[32:35], 0 offen offset:384// 0000000073B8: E1341180 80089708
	s_mov_b64 exec, s[88:89]                                   // 0000000073C0: BEFE0158
	buffer_atomic_add_f32 v152, v7, s[32:35], 0 offen offset:512// 0000000073C4: E1341200 80089807
	s_mov_b64 exec, s[84:85]                                   // 0000000073CC: BEFE0154
	s_mov_b64 exec, s[88:89]                                   // 0000000073D0: BEFE0158
	buffer_atomic_add_f32 v153, v8, s[32:35], 0 offen offset:512// 0000000073D4: E1341200 80089908
	s_mov_b64 exec, s[84:85]                                   // 0000000073DC: BEFE0154
	s_mov_b64 exec, s[90:91]                                   // 0000000073E0: BEFE015A
	buffer_atomic_add_f32 v154, v7, s[32:35], 0 offen offset:640// 0000000073E4: E1341280 80089A07
	s_mov_b64 exec, s[84:85]                                   // 0000000073EC: BEFE0154
	s_mov_b64 exec, s[90:91]                                   // 0000000073F0: BEFE015A
	buffer_atomic_add_f32 v155, v8, s[32:35], 0 offen offset:640// 0000000073F4: E1341280 80089B08
	s_mov_b64 exec, s[84:85]                                   // 0000000073FC: BEFE0154
	v_lshrrev_b32_e32 v28, 3, v0                               // 000000007400: 20380083
	v_mul_i32_i24_e32 v24, 2, v28                              // 000000007404: 0C303882
	v_and_b32_e32 v28, 7, v0                                   // 000000007408: 26380087
	v_mul_i32_i24_e32 v29, 0x44, v28                           // 00000000740C: 0C3A38FF 00000044
	v_add_u32_e32 v24, v29, v24                                // 000000007414: 6830311D
	s_mul_i32 s60, s46, 0x660                                  // 000000007418: 923CFF2E 00000660
	v_add_u32_e32 v24, s60, v24                                // 000000007420: 6830303C
	v_lshlrev_b32_e32 v24, 2, v24                              // 000000007424: 24303082
	v_accvgpr_read_b32 v30, a96                                // 000000007428: D3D8401E 18000160
	v_accvgpr_read_b32 v31, a97                                // 000000007430: D3D8401F 18000161
	v_mul_f32_e32 v30, s47, v30                                // 000000007438: 0A3C3C2F
	v_mul_f32_e32 v31, s47, v31                                // 00000000743C: 0A3E3E2F
	v_cmp_u_f32_e64 s[74:75], v30, v30                         // 000000007440: D048004A 00023D1E
	v_bfe_u32 v208, v30, 16, 1                                 // 000000007448: D1C800D0 0205211E
	v_add3_u32 v208, v30, v208, v211                           // 000000007450: D1FF00D0 074FA11E
	v_cndmask_b32_e64 v28, v208, v210, s[74:75]                // 000000007458: D100001C 012BA5D0
	v_lshrrev_b32_e32 v28, 16, v28                             // 000000007460: 20383890
	v_cmp_u_f32_e64 s[74:75], v31, v31                         // 000000007464: D048004A 00023F1F
	v_bfe_u32 v208, v31, 16, 1                                 // 00000000746C: D1C800D0 0205211F
	v_add3_u32 v208, v31, v208, v211                           // 000000007474: D1FF00D0 074FA11F
	v_cndmask_b32_e64 v29, v208, v210, s[74:75]                // 00000000747C: D100001D 012BA5D0
	v_and_or_b32 v56, v29, v209, v28                           // 000000007484: D2010038 0473A31D
	v_accvgpr_read_b32 v30, a98                                // 00000000748C: D3D8401E 18000162
	v_accvgpr_read_b32 v31, a99                                // 000000007494: D3D8401F 18000163
	v_mul_f32_e32 v30, s47, v30                                // 00000000749C: 0A3C3C2F
	v_mul_f32_e32 v31, s47, v31                                // 0000000074A0: 0A3E3E2F
	v_cmp_u_f32_e64 s[74:75], v30, v30                         // 0000000074A4: D048004A 00023D1E
	v_bfe_u32 v208, v30, 16, 1                                 // 0000000074AC: D1C800D0 0205211E
	v_add3_u32 v208, v30, v208, v211                           // 0000000074B4: D1FF00D0 074FA11E
	v_cndmask_b32_e64 v28, v208, v210, s[74:75]                // 0000000074BC: D100001C 012BA5D0
	v_lshrrev_b32_e32 v28, 16, v28                             // 0000000074C4: 20383890
	v_cmp_u_f32_e64 s[74:75], v31, v31                         // 0000000074C8: D048004A 00023F1F
	v_bfe_u32 v208, v31, 16, 1                                 // 0000000074D0: D1C800D0 0205211F
	v_add3_u32 v208, v31, v208, v211                           // 0000000074D8: D1FF00D0 074FA11F
	v_cndmask_b32_e64 v29, v208, v210, s[74:75]                // 0000000074E0: D100001D 012BA5D0
	v_and_or_b32 v57, v29, v209, v28                           // 0000000074E8: D2010039 0473A31D
	v_accvgpr_read_b32 v30, a100                               // 0000000074F0: D3D8401E 18000164
	v_accvgpr_read_b32 v31, a101                               // 0000000074F8: D3D8401F 18000165
	v_mul_f32_e32 v30, s47, v30                                // 000000007500: 0A3C3C2F
	v_mul_f32_e32 v31, s47, v31                                // 000000007504: 0A3E3E2F
	v_cmp_u_f32_e64 s[74:75], v30, v30                         // 000000007508: D048004A 00023D1E
	v_bfe_u32 v208, v30, 16, 1                                 // 000000007510: D1C800D0 0205211E
	v_add3_u32 v208, v30, v208, v211                           // 000000007518: D1FF00D0 074FA11E
	v_cndmask_b32_e64 v28, v208, v210, s[74:75]                // 000000007520: D100001C 012BA5D0
	v_lshrrev_b32_e32 v28, 16, v28                             // 000000007528: 20383890
	v_cmp_u_f32_e64 s[74:75], v31, v31                         // 00000000752C: D048004A 00023F1F
	v_bfe_u32 v208, v31, 16, 1                                 // 000000007534: D1C800D0 0205211F
	v_add3_u32 v208, v31, v208, v211                           // 00000000753C: D1FF00D0 074FA11F
	v_cndmask_b32_e64 v29, v208, v210, s[74:75]                // 000000007544: D100001D 012BA5D0
	v_and_or_b32 v58, v29, v209, v28                           // 00000000754C: D201003A 0473A31D
	v_accvgpr_read_b32 v30, a102                               // 000000007554: D3D8401E 18000166
	v_accvgpr_read_b32 v31, a103                               // 00000000755C: D3D8401F 18000167
	v_mul_f32_e32 v30, s47, v30                                // 000000007564: 0A3C3C2F
	v_mul_f32_e32 v31, s47, v31                                // 000000007568: 0A3E3E2F
	v_cmp_u_f32_e64 s[74:75], v30, v30                         // 00000000756C: D048004A 00023D1E
	v_bfe_u32 v208, v30, 16, 1                                 // 000000007574: D1C800D0 0205211E
	v_add3_u32 v208, v30, v208, v211                           // 00000000757C: D1FF00D0 074FA11E
	v_cndmask_b32_e64 v28, v208, v210, s[74:75]                // 000000007584: D100001C 012BA5D0
	v_lshrrev_b32_e32 v28, 16, v28                             // 00000000758C: 20383890
	v_cmp_u_f32_e64 s[74:75], v31, v31                         // 000000007590: D048004A 00023F1F
	v_bfe_u32 v208, v31, 16, 1                                 // 000000007598: D1C800D0 0205211F
	v_add3_u32 v208, v31, v208, v211                           // 0000000075A0: D1FF00D0 074FA11F
	v_cndmask_b32_e64 v29, v208, v210, s[74:75]                // 0000000075A8: D100001D 012BA5D0
	v_and_or_b32 v59, v29, v209, v28                           // 0000000075B0: D201003B 0473A31D
	v_accvgpr_read_b32 v30, a104                               // 0000000075B8: D3D8401E 18000168
	v_accvgpr_read_b32 v31, a105                               // 0000000075C0: D3D8401F 18000169
	v_mul_f32_e32 v30, s47, v30                                // 0000000075C8: 0A3C3C2F
	v_mul_f32_e32 v31, s47, v31                                // 0000000075CC: 0A3E3E2F
	v_cmp_u_f32_e64 s[74:75], v30, v30                         // 0000000075D0: D048004A 00023D1E
	v_bfe_u32 v208, v30, 16, 1                                 // 0000000075D8: D1C800D0 0205211E
	v_add3_u32 v208, v30, v208, v211                           // 0000000075E0: D1FF00D0 074FA11E
	v_cndmask_b32_e64 v28, v208, v210, s[74:75]                // 0000000075E8: D100001C 012BA5D0
	v_lshrrev_b32_e32 v28, 16, v28                             // 0000000075F0: 20383890
	v_cmp_u_f32_e64 s[74:75], v31, v31                         // 0000000075F4: D048004A 00023F1F
	v_bfe_u32 v208, v31, 16, 1                                 // 0000000075FC: D1C800D0 0205211F
	v_add3_u32 v208, v31, v208, v211                           // 000000007604: D1FF00D0 074FA11F
	v_cndmask_b32_e64 v29, v208, v210, s[74:75]                // 00000000760C: D100001D 012BA5D0
	v_and_or_b32 v60, v29, v209, v28                           // 000000007614: D201003C 0473A31D
	v_accvgpr_read_b32 v30, a106                               // 00000000761C: D3D8401E 1800016A
	v_accvgpr_read_b32 v31, a107                               // 000000007624: D3D8401F 1800016B
	v_mul_f32_e32 v30, s47, v30                                // 00000000762C: 0A3C3C2F
	v_mul_f32_e32 v31, s47, v31                                // 000000007630: 0A3E3E2F
	v_cmp_u_f32_e64 s[74:75], v30, v30                         // 000000007634: D048004A 00023D1E
	v_bfe_u32 v208, v30, 16, 1                                 // 00000000763C: D1C800D0 0205211E
	v_add3_u32 v208, v30, v208, v211                           // 000000007644: D1FF00D0 074FA11E
	v_cndmask_b32_e64 v28, v208, v210, s[74:75]                // 00000000764C: D100001C 012BA5D0
	v_lshrrev_b32_e32 v28, 16, v28                             // 000000007654: 20383890
	v_cmp_u_f32_e64 s[74:75], v31, v31                         // 000000007658: D048004A 00023F1F
	v_bfe_u32 v208, v31, 16, 1                                 // 000000007660: D1C800D0 0205211F
	v_add3_u32 v208, v31, v208, v211                           // 000000007668: D1FF00D0 074FA11F
	v_cndmask_b32_e64 v29, v208, v210, s[74:75]                // 000000007670: D100001D 012BA5D0
	v_and_or_b32 v61, v29, v209, v28                           // 000000007678: D201003D 0473A31D
	v_accvgpr_read_b32 v30, a108                               // 000000007680: D3D8401E 1800016C
	v_accvgpr_read_b32 v31, a109                               // 000000007688: D3D8401F 1800016D
	v_mul_f32_e32 v30, s47, v30                                // 000000007690: 0A3C3C2F
	v_mul_f32_e32 v31, s47, v31                                // 000000007694: 0A3E3E2F
	v_cmp_u_f32_e64 s[74:75], v30, v30                         // 000000007698: D048004A 00023D1E
	v_bfe_u32 v208, v30, 16, 1                                 // 0000000076A0: D1C800D0 0205211E
	v_add3_u32 v208, v30, v208, v211                           // 0000000076A8: D1FF00D0 074FA11E
	v_cndmask_b32_e64 v28, v208, v210, s[74:75]                // 0000000076B0: D100001C 012BA5D0
	v_lshrrev_b32_e32 v28, 16, v28                             // 0000000076B8: 20383890
	v_cmp_u_f32_e64 s[74:75], v31, v31                         // 0000000076BC: D048004A 00023F1F
	v_bfe_u32 v208, v31, 16, 1                                 // 0000000076C4: D1C800D0 0205211F
	v_add3_u32 v208, v31, v208, v211                           // 0000000076CC: D1FF00D0 074FA11F
	v_cndmask_b32_e64 v29, v208, v210, s[74:75]                // 0000000076D4: D100001D 012BA5D0
	v_and_or_b32 v62, v29, v209, v28                           // 0000000076DC: D201003E 0473A31D
	v_accvgpr_read_b32 v30, a110                               // 0000000076E4: D3D8401E 1800016E
	v_accvgpr_read_b32 v31, a111                               // 0000000076EC: D3D8401F 1800016F
	v_mul_f32_e32 v30, s47, v30                                // 0000000076F4: 0A3C3C2F
	v_mul_f32_e32 v31, s47, v31                                // 0000000076F8: 0A3E3E2F
	v_cmp_u_f32_e64 s[74:75], v30, v30                         // 0000000076FC: D048004A 00023D1E
	v_bfe_u32 v208, v30, 16, 1                                 // 000000007704: D1C800D0 0205211E
	v_add3_u32 v208, v30, v208, v211                           // 00000000770C: D1FF00D0 074FA11E
	v_cndmask_b32_e64 v28, v208, v210, s[74:75]                // 000000007714: D100001C 012BA5D0
	v_lshrrev_b32_e32 v28, 16, v28                             // 00000000771C: 20383890
	v_cmp_u_f32_e64 s[74:75], v31, v31                         // 000000007720: D048004A 00023F1F
	v_bfe_u32 v208, v31, 16, 1                                 // 000000007728: D1C800D0 0205211F
	v_add3_u32 v208, v31, v208, v211                           // 000000007730: D1FF00D0 074FA11F
	v_cndmask_b32_e64 v29, v208, v210, s[74:75]                // 000000007738: D100001D 012BA5D0
	v_and_or_b32 v63, v29, v209, v28                           // 000000007740: D201003F 0473A31D
	v_accvgpr_read_b32 v30, a112                               // 000000007748: D3D8401E 18000170
	v_accvgpr_read_b32 v31, a113                               // 000000007750: D3D8401F 18000171
	v_mul_f32_e32 v30, s47, v30                                // 000000007758: 0A3C3C2F
	v_mul_f32_e32 v31, s47, v31                                // 00000000775C: 0A3E3E2F
	v_cmp_u_f32_e64 s[74:75], v30, v30                         // 000000007760: D048004A 00023D1E
	v_bfe_u32 v208, v30, 16, 1                                 // 000000007768: D1C800D0 0205211E
	v_add3_u32 v208, v30, v208, v211                           // 000000007770: D1FF00D0 074FA11E
	v_cndmask_b32_e64 v28, v208, v210, s[74:75]                // 000000007778: D100001C 012BA5D0
	v_lshrrev_b32_e32 v28, 16, v28                             // 000000007780: 20383890
	v_cmp_u_f32_e64 s[74:75], v31, v31                         // 000000007784: D048004A 00023F1F
	v_bfe_u32 v208, v31, 16, 1                                 // 00000000778C: D1C800D0 0205211F
	v_add3_u32 v208, v31, v208, v211                           // 000000007794: D1FF00D0 074FA11F
	v_cndmask_b32_e64 v29, v208, v210, s[74:75]                // 00000000779C: D100001D 012BA5D0
	v_and_or_b32 v64, v29, v209, v28                           // 0000000077A4: D2010040 0473A31D
	v_accvgpr_read_b32 v30, a114                               // 0000000077AC: D3D8401E 18000172
	v_accvgpr_read_b32 v31, a115                               // 0000000077B4: D3D8401F 18000173
	v_mul_f32_e32 v30, s47, v30                                // 0000000077BC: 0A3C3C2F
	v_mul_f32_e32 v31, s47, v31                                // 0000000077C0: 0A3E3E2F
	v_cmp_u_f32_e64 s[74:75], v30, v30                         // 0000000077C4: D048004A 00023D1E
	v_bfe_u32 v208, v30, 16, 1                                 // 0000000077CC: D1C800D0 0205211E
	v_add3_u32 v208, v30, v208, v211                           // 0000000077D4: D1FF00D0 074FA11E
	v_cndmask_b32_e64 v28, v208, v210, s[74:75]                // 0000000077DC: D100001C 012BA5D0
	v_lshrrev_b32_e32 v28, 16, v28                             // 0000000077E4: 20383890
	v_cmp_u_f32_e64 s[74:75], v31, v31                         // 0000000077E8: D048004A 00023F1F
	v_bfe_u32 v208, v31, 16, 1                                 // 0000000077F0: D1C800D0 0205211F
	v_add3_u32 v208, v31, v208, v211                           // 0000000077F8: D1FF00D0 074FA11F
	v_cndmask_b32_e64 v29, v208, v210, s[74:75]                // 000000007800: D100001D 012BA5D0
	v_and_or_b32 v65, v29, v209, v28                           // 000000007808: D2010041 0473A31D
	v_accvgpr_read_b32 v30, a116                               // 000000007810: D3D8401E 18000174
	v_accvgpr_read_b32 v31, a117                               // 000000007818: D3D8401F 18000175
	v_mul_f32_e32 v30, s47, v30                                // 000000007820: 0A3C3C2F
	v_mul_f32_e32 v31, s47, v31                                // 000000007824: 0A3E3E2F
	v_cmp_u_f32_e64 s[74:75], v30, v30                         // 000000007828: D048004A 00023D1E
	v_bfe_u32 v208, v30, 16, 1                                 // 000000007830: D1C800D0 0205211E
	v_add3_u32 v208, v30, v208, v211                           // 000000007838: D1FF00D0 074FA11E
	v_cndmask_b32_e64 v28, v208, v210, s[74:75]                // 000000007840: D100001C 012BA5D0
	v_lshrrev_b32_e32 v28, 16, v28                             // 000000007848: 20383890
	v_cmp_u_f32_e64 s[74:75], v31, v31                         // 00000000784C: D048004A 00023F1F
	v_bfe_u32 v208, v31, 16, 1                                 // 000000007854: D1C800D0 0205211F
	v_add3_u32 v208, v31, v208, v211                           // 00000000785C: D1FF00D0 074FA11F
	v_cndmask_b32_e64 v29, v208, v210, s[74:75]                // 000000007864: D100001D 012BA5D0
	v_and_or_b32 v66, v29, v209, v28                           // 00000000786C: D2010042 0473A31D
	v_accvgpr_read_b32 v30, a118                               // 000000007874: D3D8401E 18000176
	v_accvgpr_read_b32 v31, a119                               // 00000000787C: D3D8401F 18000177
	v_mul_f32_e32 v30, s47, v30                                // 000000007884: 0A3C3C2F
	v_mul_f32_e32 v31, s47, v31                                // 000000007888: 0A3E3E2F
	v_cmp_u_f32_e64 s[74:75], v30, v30                         // 00000000788C: D048004A 00023D1E
	v_bfe_u32 v208, v30, 16, 1                                 // 000000007894: D1C800D0 0205211E
	v_add3_u32 v208, v30, v208, v211                           // 00000000789C: D1FF00D0 074FA11E
	v_cndmask_b32_e64 v28, v208, v210, s[74:75]                // 0000000078A4: D100001C 012BA5D0
	v_lshrrev_b32_e32 v28, 16, v28                             // 0000000078AC: 20383890
	v_cmp_u_f32_e64 s[74:75], v31, v31                         // 0000000078B0: D048004A 00023F1F
	v_bfe_u32 v208, v31, 16, 1                                 // 0000000078B8: D1C800D0 0205211F
	v_add3_u32 v208, v31, v208, v211                           // 0000000078C0: D1FF00D0 074FA11F
	v_cndmask_b32_e64 v29, v208, v210, s[74:75]                // 0000000078C8: D100001D 012BA5D0
	v_and_or_b32 v67, v29, v209, v28                           // 0000000078D0: D2010043 0473A31D
	v_accvgpr_read_b32 v30, a120                               // 0000000078D8: D3D8401E 18000178
	v_accvgpr_read_b32 v31, a121                               // 0000000078E0: D3D8401F 18000179
	v_mul_f32_e32 v30, s47, v30                                // 0000000078E8: 0A3C3C2F
	v_mul_f32_e32 v31, s47, v31                                // 0000000078EC: 0A3E3E2F
	v_cmp_u_f32_e64 s[74:75], v30, v30                         // 0000000078F0: D048004A 00023D1E
	v_bfe_u32 v208, v30, 16, 1                                 // 0000000078F8: D1C800D0 0205211E
	v_add3_u32 v208, v30, v208, v211                           // 000000007900: D1FF00D0 074FA11E
	v_cndmask_b32_e64 v28, v208, v210, s[74:75]                // 000000007908: D100001C 012BA5D0
	v_lshrrev_b32_e32 v28, 16, v28                             // 000000007910: 20383890
	v_cmp_u_f32_e64 s[74:75], v31, v31                         // 000000007914: D048004A 00023F1F
	v_bfe_u32 v208, v31, 16, 1                                 // 00000000791C: D1C800D0 0205211F
	v_add3_u32 v208, v31, v208, v211                           // 000000007924: D1FF00D0 074FA11F
	v_cndmask_b32_e64 v29, v208, v210, s[74:75]                // 00000000792C: D100001D 012BA5D0
	v_and_or_b32 v68, v29, v209, v28                           // 000000007934: D2010044 0473A31D
	v_accvgpr_read_b32 v30, a122                               // 00000000793C: D3D8401E 1800017A
	v_accvgpr_read_b32 v31, a123                               // 000000007944: D3D8401F 1800017B
	v_mul_f32_e32 v30, s47, v30                                // 00000000794C: 0A3C3C2F
	v_mul_f32_e32 v31, s47, v31                                // 000000007950: 0A3E3E2F
	v_cmp_u_f32_e64 s[74:75], v30, v30                         // 000000007954: D048004A 00023D1E
	v_bfe_u32 v208, v30, 16, 1                                 // 00000000795C: D1C800D0 0205211E
	v_add3_u32 v208, v30, v208, v211                           // 000000007964: D1FF00D0 074FA11E
	v_cndmask_b32_e64 v28, v208, v210, s[74:75]                // 00000000796C: D100001C 012BA5D0
	v_lshrrev_b32_e32 v28, 16, v28                             // 000000007974: 20383890
	v_cmp_u_f32_e64 s[74:75], v31, v31                         // 000000007978: D048004A 00023F1F
	v_bfe_u32 v208, v31, 16, 1                                 // 000000007980: D1C800D0 0205211F
	v_add3_u32 v208, v31, v208, v211                           // 000000007988: D1FF00D0 074FA11F
	v_cndmask_b32_e64 v29, v208, v210, s[74:75]                // 000000007990: D100001D 012BA5D0
	v_and_or_b32 v69, v29, v209, v28                           // 000000007998: D2010045 0473A31D
	v_accvgpr_read_b32 v30, a124                               // 0000000079A0: D3D8401E 1800017C
	v_accvgpr_read_b32 v31, a125                               // 0000000079A8: D3D8401F 1800017D
	v_mul_f32_e32 v30, s47, v30                                // 0000000079B0: 0A3C3C2F
	v_mul_f32_e32 v31, s47, v31                                // 0000000079B4: 0A3E3E2F
	v_cmp_u_f32_e64 s[74:75], v30, v30                         // 0000000079B8: D048004A 00023D1E
	v_bfe_u32 v208, v30, 16, 1                                 // 0000000079C0: D1C800D0 0205211E
	v_add3_u32 v208, v30, v208, v211                           // 0000000079C8: D1FF00D0 074FA11E
	v_cndmask_b32_e64 v28, v208, v210, s[74:75]                // 0000000079D0: D100001C 012BA5D0
	v_lshrrev_b32_e32 v28, 16, v28                             // 0000000079D8: 20383890
	v_cmp_u_f32_e64 s[74:75], v31, v31                         // 0000000079DC: D048004A 00023F1F
	v_bfe_u32 v208, v31, 16, 1                                 // 0000000079E4: D1C800D0 0205211F
	v_add3_u32 v208, v31, v208, v211                           // 0000000079EC: D1FF00D0 074FA11F
	v_cndmask_b32_e64 v29, v208, v210, s[74:75]                // 0000000079F4: D100001D 012BA5D0
	v_and_or_b32 v70, v29, v209, v28                           // 0000000079FC: D2010046 0473A31D
	v_accvgpr_read_b32 v30, a126                               // 000000007A04: D3D8401E 1800017E
	v_accvgpr_read_b32 v31, a127                               // 000000007A0C: D3D8401F 1800017F
	v_mul_f32_e32 v30, s47, v30                                // 000000007A14: 0A3C3C2F
	v_mul_f32_e32 v31, s47, v31                                // 000000007A18: 0A3E3E2F
	v_cmp_u_f32_e64 s[74:75], v30, v30                         // 000000007A1C: D048004A 00023D1E
	v_bfe_u32 v208, v30, 16, 1                                 // 000000007A24: D1C800D0 0205211E
	v_add3_u32 v208, v30, v208, v211                           // 000000007A2C: D1FF00D0 074FA11E
	v_cndmask_b32_e64 v28, v208, v210, s[74:75]                // 000000007A34: D100001C 012BA5D0
	v_lshrrev_b32_e32 v28, 16, v28                             // 000000007A3C: 20383890
	v_cmp_u_f32_e64 s[74:75], v31, v31                         // 000000007A40: D048004A 00023F1F
	v_bfe_u32 v208, v31, 16, 1                                 // 000000007A48: D1C800D0 0205211F
	v_add3_u32 v208, v31, v208, v211                           // 000000007A50: D1FF00D0 074FA11F
	v_cndmask_b32_e64 v29, v208, v210, s[74:75]                // 000000007A58: D100001D 012BA5D0
	v_and_or_b32 v71, v29, v209, v28                           // 000000007A60: D2010047 0473A31D
	v_accvgpr_read_b32 v30, a128                               // 000000007A68: D3D8401E 18000180
	v_accvgpr_read_b32 v31, a129                               // 000000007A70: D3D8401F 18000181
	v_mul_f32_e32 v30, s47, v30                                // 000000007A78: 0A3C3C2F
	v_mul_f32_e32 v31, s47, v31                                // 000000007A7C: 0A3E3E2F
	v_cmp_u_f32_e64 s[74:75], v30, v30                         // 000000007A80: D048004A 00023D1E
	v_bfe_u32 v208, v30, 16, 1                                 // 000000007A88: D1C800D0 0205211E
	v_add3_u32 v208, v30, v208, v211                           // 000000007A90: D1FF00D0 074FA11E
	v_cndmask_b32_e64 v28, v208, v210, s[74:75]                // 000000007A98: D100001C 012BA5D0
	v_lshrrev_b32_e32 v28, 16, v28                             // 000000007AA0: 20383890
	v_cmp_u_f32_e64 s[74:75], v31, v31                         // 000000007AA4: D048004A 00023F1F
	v_bfe_u32 v208, v31, 16, 1                                 // 000000007AAC: D1C800D0 0205211F
	v_add3_u32 v208, v31, v208, v211                           // 000000007AB4: D1FF00D0 074FA11F
	v_cndmask_b32_e64 v29, v208, v210, s[74:75]                // 000000007ABC: D100001D 012BA5D0
	v_and_or_b32 v72, v29, v209, v28                           // 000000007AC4: D2010048 0473A31D
	v_accvgpr_read_b32 v30, a130                               // 000000007ACC: D3D8401E 18000182
	v_accvgpr_read_b32 v31, a131                               // 000000007AD4: D3D8401F 18000183
	v_mul_f32_e32 v30, s47, v30                                // 000000007ADC: 0A3C3C2F
	v_mul_f32_e32 v31, s47, v31                                // 000000007AE0: 0A3E3E2F
	v_cmp_u_f32_e64 s[74:75], v30, v30                         // 000000007AE4: D048004A 00023D1E
	v_bfe_u32 v208, v30, 16, 1                                 // 000000007AEC: D1C800D0 0205211E
	v_add3_u32 v208, v30, v208, v211                           // 000000007AF4: D1FF00D0 074FA11E
	v_cndmask_b32_e64 v28, v208, v210, s[74:75]                // 000000007AFC: D100001C 012BA5D0
	v_lshrrev_b32_e32 v28, 16, v28                             // 000000007B04: 20383890
	v_cmp_u_f32_e64 s[74:75], v31, v31                         // 000000007B08: D048004A 00023F1F
	v_bfe_u32 v208, v31, 16, 1                                 // 000000007B10: D1C800D0 0205211F
	v_add3_u32 v208, v31, v208, v211                           // 000000007B18: D1FF00D0 074FA11F
	v_cndmask_b32_e64 v29, v208, v210, s[74:75]                // 000000007B20: D100001D 012BA5D0
	v_and_or_b32 v73, v29, v209, v28                           // 000000007B28: D2010049 0473A31D
	v_accvgpr_read_b32 v30, a132                               // 000000007B30: D3D8401E 18000184
	v_accvgpr_read_b32 v31, a133                               // 000000007B38: D3D8401F 18000185
	v_mul_f32_e32 v30, s47, v30                                // 000000007B40: 0A3C3C2F
	v_mul_f32_e32 v31, s47, v31                                // 000000007B44: 0A3E3E2F
	v_cmp_u_f32_e64 s[74:75], v30, v30                         // 000000007B48: D048004A 00023D1E
	v_bfe_u32 v208, v30, 16, 1                                 // 000000007B50: D1C800D0 0205211E
	v_add3_u32 v208, v30, v208, v211                           // 000000007B58: D1FF00D0 074FA11E
	v_cndmask_b32_e64 v28, v208, v210, s[74:75]                // 000000007B60: D100001C 012BA5D0
	v_lshrrev_b32_e32 v28, 16, v28                             // 000000007B68: 20383890
	v_cmp_u_f32_e64 s[74:75], v31, v31                         // 000000007B6C: D048004A 00023F1F
	v_bfe_u32 v208, v31, 16, 1                                 // 000000007B74: D1C800D0 0205211F
	v_add3_u32 v208, v31, v208, v211                           // 000000007B7C: D1FF00D0 074FA11F
	v_cndmask_b32_e64 v29, v208, v210, s[74:75]                // 000000007B84: D100001D 012BA5D0
	v_and_or_b32 v74, v29, v209, v28                           // 000000007B8C: D201004A 0473A31D
	v_accvgpr_read_b32 v30, a134                               // 000000007B94: D3D8401E 18000186
	v_accvgpr_read_b32 v31, a135                               // 000000007B9C: D3D8401F 18000187
	v_mul_f32_e32 v30, s47, v30                                // 000000007BA4: 0A3C3C2F
	v_mul_f32_e32 v31, s47, v31                                // 000000007BA8: 0A3E3E2F
	v_cmp_u_f32_e64 s[74:75], v30, v30                         // 000000007BAC: D048004A 00023D1E
	v_bfe_u32 v208, v30, 16, 1                                 // 000000007BB4: D1C800D0 0205211E
	v_add3_u32 v208, v30, v208, v211                           // 000000007BBC: D1FF00D0 074FA11E
	v_cndmask_b32_e64 v28, v208, v210, s[74:75]                // 000000007BC4: D100001C 012BA5D0
	v_lshrrev_b32_e32 v28, 16, v28                             // 000000007BCC: 20383890
	v_cmp_u_f32_e64 s[74:75], v31, v31                         // 000000007BD0: D048004A 00023F1F
	v_bfe_u32 v208, v31, 16, 1                                 // 000000007BD8: D1C800D0 0205211F
	v_add3_u32 v208, v31, v208, v211                           // 000000007BE0: D1FF00D0 074FA11F
	v_cndmask_b32_e64 v29, v208, v210, s[74:75]                // 000000007BE8: D100001D 012BA5D0
	v_and_or_b32 v75, v29, v209, v28                           // 000000007BF0: D201004B 0473A31D
	v_accvgpr_read_b32 v30, a136                               // 000000007BF8: D3D8401E 18000188
	v_accvgpr_read_b32 v31, a137                               // 000000007C00: D3D8401F 18000189
	v_mul_f32_e32 v30, s47, v30                                // 000000007C08: 0A3C3C2F
	v_mul_f32_e32 v31, s47, v31                                // 000000007C0C: 0A3E3E2F
	v_cmp_u_f32_e64 s[74:75], v30, v30                         // 000000007C10: D048004A 00023D1E
	v_bfe_u32 v208, v30, 16, 1                                 // 000000007C18: D1C800D0 0205211E
	v_add3_u32 v208, v30, v208, v211                           // 000000007C20: D1FF00D0 074FA11E
	v_cndmask_b32_e64 v28, v208, v210, s[74:75]                // 000000007C28: D100001C 012BA5D0
	v_lshrrev_b32_e32 v28, 16, v28                             // 000000007C30: 20383890
	v_cmp_u_f32_e64 s[74:75], v31, v31                         // 000000007C34: D048004A 00023F1F
	v_bfe_u32 v208, v31, 16, 1                                 // 000000007C3C: D1C800D0 0205211F
	v_add3_u32 v208, v31, v208, v211                           // 000000007C44: D1FF00D0 074FA11F
	v_cndmask_b32_e64 v29, v208, v210, s[74:75]                // 000000007C4C: D100001D 012BA5D0
	v_and_or_b32 v76, v29, v209, v28                           // 000000007C54: D201004C 0473A31D
	v_accvgpr_read_b32 v30, a138                               // 000000007C5C: D3D8401E 1800018A
	v_accvgpr_read_b32 v31, a139                               // 000000007C64: D3D8401F 1800018B
	v_mul_f32_e32 v30, s47, v30                                // 000000007C6C: 0A3C3C2F
	v_mul_f32_e32 v31, s47, v31                                // 000000007C70: 0A3E3E2F
	v_cmp_u_f32_e64 s[74:75], v30, v30                         // 000000007C74: D048004A 00023D1E
	v_bfe_u32 v208, v30, 16, 1                                 // 000000007C7C: D1C800D0 0205211E
	v_add3_u32 v208, v30, v208, v211                           // 000000007C84: D1FF00D0 074FA11E
	v_cndmask_b32_e64 v28, v208, v210, s[74:75]                // 000000007C8C: D100001C 012BA5D0
	v_lshrrev_b32_e32 v28, 16, v28                             // 000000007C94: 20383890
	v_cmp_u_f32_e64 s[74:75], v31, v31                         // 000000007C98: D048004A 00023F1F
	v_bfe_u32 v208, v31, 16, 1                                 // 000000007CA0: D1C800D0 0205211F
	v_add3_u32 v208, v31, v208, v211                           // 000000007CA8: D1FF00D0 074FA11F
	v_cndmask_b32_e64 v29, v208, v210, s[74:75]                // 000000007CB0: D100001D 012BA5D0
	v_and_or_b32 v77, v29, v209, v28                           // 000000007CB8: D201004D 0473A31D
	v_accvgpr_read_b32 v30, a140                               // 000000007CC0: D3D8401E 1800018C
	v_accvgpr_read_b32 v31, a141                               // 000000007CC8: D3D8401F 1800018D
	v_mul_f32_e32 v30, s47, v30                                // 000000007CD0: 0A3C3C2F
	v_mul_f32_e32 v31, s47, v31                                // 000000007CD4: 0A3E3E2F
	v_cmp_u_f32_e64 s[74:75], v30, v30                         // 000000007CD8: D048004A 00023D1E
	v_bfe_u32 v208, v30, 16, 1                                 // 000000007CE0: D1C800D0 0205211E
	v_add3_u32 v208, v30, v208, v211                           // 000000007CE8: D1FF00D0 074FA11E
	v_cndmask_b32_e64 v28, v208, v210, s[74:75]                // 000000007CF0: D100001C 012BA5D0
	v_lshrrev_b32_e32 v28, 16, v28                             // 000000007CF8: 20383890
	v_cmp_u_f32_e64 s[74:75], v31, v31                         // 000000007CFC: D048004A 00023F1F
	v_bfe_u32 v208, v31, 16, 1                                 // 000000007D04: D1C800D0 0205211F
	v_add3_u32 v208, v31, v208, v211                           // 000000007D0C: D1FF00D0 074FA11F
	v_cndmask_b32_e64 v29, v208, v210, s[74:75]                // 000000007D14: D100001D 012BA5D0
	v_and_or_b32 v78, v29, v209, v28                           // 000000007D1C: D201004E 0473A31D
	v_accvgpr_read_b32 v30, a142                               // 000000007D24: D3D8401E 1800018E
	v_accvgpr_read_b32 v31, a143                               // 000000007D2C: D3D8401F 1800018F
	v_mul_f32_e32 v30, s47, v30                                // 000000007D34: 0A3C3C2F
	v_mul_f32_e32 v31, s47, v31                                // 000000007D38: 0A3E3E2F
	v_cmp_u_f32_e64 s[74:75], v30, v30                         // 000000007D3C: D048004A 00023D1E
	v_bfe_u32 v208, v30, 16, 1                                 // 000000007D44: D1C800D0 0205211E
	v_add3_u32 v208, v30, v208, v211                           // 000000007D4C: D1FF00D0 074FA11E
	v_cndmask_b32_e64 v28, v208, v210, s[74:75]                // 000000007D54: D100001C 012BA5D0
	v_lshrrev_b32_e32 v28, 16, v28                             // 000000007D5C: 20383890
	v_cmp_u_f32_e64 s[74:75], v31, v31                         // 000000007D60: D048004A 00023F1F
	v_bfe_u32 v208, v31, 16, 1                                 // 000000007D68: D1C800D0 0205211F
	v_add3_u32 v208, v31, v208, v211                           // 000000007D70: D1FF00D0 074FA11F
	v_cndmask_b32_e64 v29, v208, v210, s[74:75]                // 000000007D78: D100001D 012BA5D0
	v_and_or_b32 v79, v29, v209, v28                           // 000000007D80: D201004F 0473A31D
	ds_write_b64 v25, v[56:57]                                 // 000000007D88: D89A0000 00003819
	ds_write_b64 v25, v[58:59] offset:544                      // 000000007D90: D89A0220 00003A19
	ds_write_b64 v25, v[60:61] offset:1088                     // 000000007D98: D89A0440 00003C19
	ds_write_b64 v25, v[62:63] offset:1632                     // 000000007DA0: D89A0660 00003E19
	ds_write_b64 v25, v[64:65] offset:2176                     // 000000007DA8: D89A0880 00004019
	ds_write_b64 v25, v[66:67] offset:2720                     // 000000007DB0: D89A0AA0 00004219
	ds_write_b64 v25, v[68:69] offset:3264                     // 000000007DB8: D89A0CC0 00004419
	ds_write_b64 v25, v[70:71] offset:3808                     // 000000007DC0: D89A0EE0 00004619
	ds_write_b64 v25, v[72:73] offset:4352                     // 000000007DC8: D89A1100 00004819
	ds_write_b64 v25, v[74:75] offset:4896                     // 000000007DD0: D89A1320 00004A19
	ds_write_b64 v25, v[76:77] offset:5440                     // 000000007DD8: D89A1540 00004C19
	ds_write_b64 v25, v[78:79] offset:5984                     // 000000007DE0: D89A1760 00004E19
	s_waitcnt lgkmcnt(0)                                       // 000000007DE8: BF8CC07F
	s_barrier                                                  // 000000007DEC: BF8A0000
	ds_read_b64 v[56:57], v24                                  // 000000007DF0: D8EC0000 38000018
	ds_read_b64 v[58:59], v24 offset:128                       // 000000007DF8: D8EC0080 3A000018
	ds_read_b64 v[60:61], v24 offset:64                        // 000000007E00: D8EC0040 3C000018
	ds_read_b64 v[62:63], v24 offset:192                       // 000000007E08: D8EC00C0 3E000018
	ds_read_b64 v[64:65], v24 offset:2176                      // 000000007E10: D8EC0880 40000018
	ds_read_b64 v[66:67], v24 offset:2304                      // 000000007E18: D8EC0900 42000018
	ds_read_b64 v[68:69], v24 offset:2240                      // 000000007E20: D8EC08C0 44000018
	ds_read_b64 v[70:71], v24 offset:2368                      // 000000007E28: D8EC0940 46000018
	ds_read_b64 v[72:73], v24 offset:4352                      // 000000007E30: D8EC1100 48000018
	ds_read_b64 v[74:75], v24 offset:4480                      // 000000007E38: D8EC1180 4A000018
	ds_read_b64 v[76:77], v24 offset:4416                      // 000000007E40: D8EC1140 4C000018
	ds_read_b64 v[78:79], v24 offset:4544                      // 000000007E48: D8EC11C0 4E000018
	s_waitcnt lgkmcnt(0)                                       // 000000007E50: BF8CC07F
	buffer_store_dwordx4 v[56:59], v3, s[36:39], 0 idxen       // 000000007E54: E07C2000 80093803
	v_add_u32_e32 v3, 32, v3                                   // 000000007E5C: 680606A0
	buffer_store_dwordx4 v[60:63], v4, s[36:39], 0 idxen       // 000000007E60: E07C2000 80093C04
	v_add_u32_e32 v4, 32, v4                                   // 000000007E68: 680808A0
	buffer_store_dwordx4 v[64:67], v3, s[36:39], 0 idxen       // 000000007E6C: E07C2000 80094003
	v_add_u32_e32 v3, 32, v3                                   // 000000007E74: 680606A0
	buffer_store_dwordx4 v[68:71], v4, s[36:39], 0 idxen       // 000000007E78: E07C2000 80094404
	v_add_u32_e32 v4, 32, v4                                   // 000000007E80: 680808A0
	s_mov_b64 exec, s[86:87]                                   // 000000007E84: BEFE0156
	buffer_store_dwordx4 v[72:75], v3, s[36:39], 0 idxen       // 000000007E88: E07C2000 80094803
	s_mov_b64 exec, s[84:85]                                   // 000000007E90: BEFE0154
	v_add_u32_e32 v3, 32, v3                                   // 000000007E94: 680606A0
	s_mov_b64 exec, s[86:87]                                   // 000000007E98: BEFE0156
	buffer_store_dwordx4 v[76:79], v4, s[36:39], 0 idxen       // 000000007E9C: E07C2000 80094C04
	s_mov_b64 exec, s[84:85]                                   // 000000007EA4: BEFE0154
	v_add_u32_e32 v4, 32, v4                                   // 000000007EA8: 680808A0
	s_barrier                                                  // 000000007EAC: BF8A0000
	v_mov_b32_e32 v30, v160                                    // 000000007EB0: 7E3C03A0
	v_mov_b32_e32 v31, v161                                    // 000000007EB4: 7E3E03A1
	v_cmp_u_f32_e64 s[74:75], v30, v30                         // 000000007EB8: D048004A 00023D1E
	v_bfe_u32 v208, v30, 16, 1                                 // 000000007EC0: D1C800D0 0205211E
	v_add3_u32 v208, v30, v208, v211                           // 000000007EC8: D1FF00D0 074FA11E
	v_cndmask_b32_e64 v28, v208, v210, s[74:75]                // 000000007ED0: D100001C 012BA5D0
	v_lshrrev_b32_e32 v28, 16, v28                             // 000000007ED8: 20383890
	v_cmp_u_f32_e64 s[74:75], v31, v31                         // 000000007EDC: D048004A 00023F1F
	v_bfe_u32 v208, v31, 16, 1                                 // 000000007EE4: D1C800D0 0205211F
	v_add3_u32 v208, v31, v208, v211                           // 000000007EEC: D1FF00D0 074FA11F
	v_cndmask_b32_e64 v29, v208, v210, s[74:75]                // 000000007EF4: D100001D 012BA5D0
	v_and_or_b32 v160, v29, v209, v28                          // 000000007EFC: D20100A0 0473A31D
	v_mov_b32_e32 v30, v162                                    // 000000007F04: 7E3C03A2
	v_mov_b32_e32 v31, v163                                    // 000000007F08: 7E3E03A3
	v_cmp_u_f32_e64 s[74:75], v30, v30                         // 000000007F0C: D048004A 00023D1E
	v_bfe_u32 v208, v30, 16, 1                                 // 000000007F14: D1C800D0 0205211E
	v_add3_u32 v208, v30, v208, v211                           // 000000007F1C: D1FF00D0 074FA11E
	v_cndmask_b32_e64 v28, v208, v210, s[74:75]                // 000000007F24: D100001C 012BA5D0
	v_lshrrev_b32_e32 v28, 16, v28                             // 000000007F2C: 20383890
	v_cmp_u_f32_e64 s[74:75], v31, v31                         // 000000007F30: D048004A 00023F1F
	v_bfe_u32 v208, v31, 16, 1                                 // 000000007F38: D1C800D0 0205211F
	v_add3_u32 v208, v31, v208, v211                           // 000000007F40: D1FF00D0 074FA11F
	v_cndmask_b32_e64 v29, v208, v210, s[74:75]                // 000000007F48: D100001D 012BA5D0
	v_and_or_b32 v161, v29, v209, v28                          // 000000007F50: D20100A1 0473A31D
	v_mov_b32_e32 v30, v164                                    // 000000007F58: 7E3C03A4
	v_mov_b32_e32 v31, v165                                    // 000000007F5C: 7E3E03A5
	v_cmp_u_f32_e64 s[74:75], v30, v30                         // 000000007F60: D048004A 00023D1E
	v_bfe_u32 v208, v30, 16, 1                                 // 000000007F68: D1C800D0 0205211E
	v_add3_u32 v208, v30, v208, v211                           // 000000007F70: D1FF00D0 074FA11E
	v_cndmask_b32_e64 v28, v208, v210, s[74:75]                // 000000007F78: D100001C 012BA5D0
	v_lshrrev_b32_e32 v28, 16, v28                             // 000000007F80: 20383890
	v_cmp_u_f32_e64 s[74:75], v31, v31                         // 000000007F84: D048004A 00023F1F
	v_bfe_u32 v208, v31, 16, 1                                 // 000000007F8C: D1C800D0 0205211F
	v_add3_u32 v208, v31, v208, v211                           // 000000007F94: D1FF00D0 074FA11F
	v_cndmask_b32_e64 v29, v208, v210, s[74:75]                // 000000007F9C: D100001D 012BA5D0
	v_and_or_b32 v162, v29, v209, v28                          // 000000007FA4: D20100A2 0473A31D
	v_mov_b32_e32 v30, v166                                    // 000000007FAC: 7E3C03A6
	v_mov_b32_e32 v31, v167                                    // 000000007FB0: 7E3E03A7
	v_cmp_u_f32_e64 s[74:75], v30, v30                         // 000000007FB4: D048004A 00023D1E
	v_bfe_u32 v208, v30, 16, 1                                 // 000000007FBC: D1C800D0 0205211E
	v_add3_u32 v208, v30, v208, v211                           // 000000007FC4: D1FF00D0 074FA11E
	v_cndmask_b32_e64 v28, v208, v210, s[74:75]                // 000000007FCC: D100001C 012BA5D0
	v_lshrrev_b32_e32 v28, 16, v28                             // 000000007FD4: 20383890
	v_cmp_u_f32_e64 s[74:75], v31, v31                         // 000000007FD8: D048004A 00023F1F
	v_bfe_u32 v208, v31, 16, 1                                 // 000000007FE0: D1C800D0 0205211F
	v_add3_u32 v208, v31, v208, v211                           // 000000007FE8: D1FF00D0 074FA11F
	v_cndmask_b32_e64 v29, v208, v210, s[74:75]                // 000000007FF0: D100001D 012BA5D0
	v_and_or_b32 v163, v29, v209, v28                          // 000000007FF8: D20100A3 0473A31D
	v_mov_b32_e32 v30, v168                                    // 000000008000: 7E3C03A8
	v_mov_b32_e32 v31, v169                                    // 000000008004: 7E3E03A9
	v_cmp_u_f32_e64 s[74:75], v30, v30                         // 000000008008: D048004A 00023D1E
	v_bfe_u32 v208, v30, 16, 1                                 // 000000008010: D1C800D0 0205211E
	v_add3_u32 v208, v30, v208, v211                           // 000000008018: D1FF00D0 074FA11E
	v_cndmask_b32_e64 v28, v208, v210, s[74:75]                // 000000008020: D100001C 012BA5D0
	v_lshrrev_b32_e32 v28, 16, v28                             // 000000008028: 20383890
	v_cmp_u_f32_e64 s[74:75], v31, v31                         // 00000000802C: D048004A 00023F1F
	v_bfe_u32 v208, v31, 16, 1                                 // 000000008034: D1C800D0 0205211F
	v_add3_u32 v208, v31, v208, v211                           // 00000000803C: D1FF00D0 074FA11F
	v_cndmask_b32_e64 v29, v208, v210, s[74:75]                // 000000008044: D100001D 012BA5D0
	v_and_or_b32 v164, v29, v209, v28                          // 00000000804C: D20100A4 0473A31D
	v_mov_b32_e32 v30, v170                                    // 000000008054: 7E3C03AA
	v_mov_b32_e32 v31, v171                                    // 000000008058: 7E3E03AB
	v_cmp_u_f32_e64 s[74:75], v30, v30                         // 00000000805C: D048004A 00023D1E
	v_bfe_u32 v208, v30, 16, 1                                 // 000000008064: D1C800D0 0205211E
	v_add3_u32 v208, v30, v208, v211                           // 00000000806C: D1FF00D0 074FA11E
	v_cndmask_b32_e64 v28, v208, v210, s[74:75]                // 000000008074: D100001C 012BA5D0
	v_lshrrev_b32_e32 v28, 16, v28                             // 00000000807C: 20383890
	v_cmp_u_f32_e64 s[74:75], v31, v31                         // 000000008080: D048004A 00023F1F
	v_bfe_u32 v208, v31, 16, 1                                 // 000000008088: D1C800D0 0205211F
	v_add3_u32 v208, v31, v208, v211                           // 000000008090: D1FF00D0 074FA11F
	v_cndmask_b32_e64 v29, v208, v210, s[74:75]                // 000000008098: D100001D 012BA5D0
	v_and_or_b32 v165, v29, v209, v28                          // 0000000080A0: D20100A5 0473A31D
	v_mov_b32_e32 v30, v172                                    // 0000000080A8: 7E3C03AC
	v_mov_b32_e32 v31, v173                                    // 0000000080AC: 7E3E03AD
	v_cmp_u_f32_e64 s[74:75], v30, v30                         // 0000000080B0: D048004A 00023D1E
	v_bfe_u32 v208, v30, 16, 1                                 // 0000000080B8: D1C800D0 0205211E
	v_add3_u32 v208, v30, v208, v211                           // 0000000080C0: D1FF00D0 074FA11E
	v_cndmask_b32_e64 v28, v208, v210, s[74:75]                // 0000000080C8: D100001C 012BA5D0
	v_lshrrev_b32_e32 v28, 16, v28                             // 0000000080D0: 20383890
	v_cmp_u_f32_e64 s[74:75], v31, v31                         // 0000000080D4: D048004A 00023F1F
	v_bfe_u32 v208, v31, 16, 1                                 // 0000000080DC: D1C800D0 0205211F
	v_add3_u32 v208, v31, v208, v211                           // 0000000080E4: D1FF00D0 074FA11F
	v_cndmask_b32_e64 v29, v208, v210, s[74:75]                // 0000000080EC: D100001D 012BA5D0
	v_and_or_b32 v166, v29, v209, v28                          // 0000000080F4: D20100A6 0473A31D
	v_mov_b32_e32 v30, v174                                    // 0000000080FC: 7E3C03AE
	v_mov_b32_e32 v31, v175                                    // 000000008100: 7E3E03AF
	v_cmp_u_f32_e64 s[74:75], v30, v30                         // 000000008104: D048004A 00023D1E
	v_bfe_u32 v208, v30, 16, 1                                 // 00000000810C: D1C800D0 0205211E
	v_add3_u32 v208, v30, v208, v211                           // 000000008114: D1FF00D0 074FA11E
	v_cndmask_b32_e64 v28, v208, v210, s[74:75]                // 00000000811C: D100001C 012BA5D0
	v_lshrrev_b32_e32 v28, 16, v28                             // 000000008124: 20383890
	v_cmp_u_f32_e64 s[74:75], v31, v31                         // 000000008128: D048004A 00023F1F
	v_bfe_u32 v208, v31, 16, 1                                 // 000000008130: D1C800D0 0205211F
	v_add3_u32 v208, v31, v208, v211                           // 000000008138: D1FF00D0 074FA11F
	v_cndmask_b32_e64 v29, v208, v210, s[74:75]                // 000000008140: D100001D 012BA5D0
	v_and_or_b32 v167, v29, v209, v28                          // 000000008148: D20100A7 0473A31D
	v_mov_b32_e32 v30, v176                                    // 000000008150: 7E3C03B0
	v_mov_b32_e32 v31, v177                                    // 000000008154: 7E3E03B1
	v_cmp_u_f32_e64 s[74:75], v30, v30                         // 000000008158: D048004A 00023D1E
	v_bfe_u32 v208, v30, 16, 1                                 // 000000008160: D1C800D0 0205211E
	v_add3_u32 v208, v30, v208, v211                           // 000000008168: D1FF00D0 074FA11E
	v_cndmask_b32_e64 v28, v208, v210, s[74:75]                // 000000008170: D100001C 012BA5D0
	v_lshrrev_b32_e32 v28, 16, v28                             // 000000008178: 20383890
	v_cmp_u_f32_e64 s[74:75], v31, v31                         // 00000000817C: D048004A 00023F1F
	v_bfe_u32 v208, v31, 16, 1                                 // 000000008184: D1C800D0 0205211F
	v_add3_u32 v208, v31, v208, v211                           // 00000000818C: D1FF00D0 074FA11F
	v_cndmask_b32_e64 v29, v208, v210, s[74:75]                // 000000008194: D100001D 012BA5D0
	v_and_or_b32 v168, v29, v209, v28                          // 00000000819C: D20100A8 0473A31D
	v_mov_b32_e32 v30, v178                                    // 0000000081A4: 7E3C03B2
	v_mov_b32_e32 v31, v179                                    // 0000000081A8: 7E3E03B3
	v_cmp_u_f32_e64 s[74:75], v30, v30                         // 0000000081AC: D048004A 00023D1E
	v_bfe_u32 v208, v30, 16, 1                                 // 0000000081B4: D1C800D0 0205211E
	v_add3_u32 v208, v30, v208, v211                           // 0000000081BC: D1FF00D0 074FA11E
	v_cndmask_b32_e64 v28, v208, v210, s[74:75]                // 0000000081C4: D100001C 012BA5D0
	v_lshrrev_b32_e32 v28, 16, v28                             // 0000000081CC: 20383890
	v_cmp_u_f32_e64 s[74:75], v31, v31                         // 0000000081D0: D048004A 00023F1F
	v_bfe_u32 v208, v31, 16, 1                                 // 0000000081D8: D1C800D0 0205211F
	v_add3_u32 v208, v31, v208, v211                           // 0000000081E0: D1FF00D0 074FA11F
	v_cndmask_b32_e64 v29, v208, v210, s[74:75]                // 0000000081E8: D100001D 012BA5D0
	v_and_or_b32 v169, v29, v209, v28                          // 0000000081F0: D20100A9 0473A31D
	v_mov_b32_e32 v30, v180                                    // 0000000081F8: 7E3C03B4
	v_mov_b32_e32 v31, v181                                    // 0000000081FC: 7E3E03B5
	v_cmp_u_f32_e64 s[74:75], v30, v30                         // 000000008200: D048004A 00023D1E
	v_bfe_u32 v208, v30, 16, 1                                 // 000000008208: D1C800D0 0205211E
	v_add3_u32 v208, v30, v208, v211                           // 000000008210: D1FF00D0 074FA11E
	v_cndmask_b32_e64 v28, v208, v210, s[74:75]                // 000000008218: D100001C 012BA5D0
	v_lshrrev_b32_e32 v28, 16, v28                             // 000000008220: 20383890
	v_cmp_u_f32_e64 s[74:75], v31, v31                         // 000000008224: D048004A 00023F1F
	v_bfe_u32 v208, v31, 16, 1                                 // 00000000822C: D1C800D0 0205211F
	v_add3_u32 v208, v31, v208, v211                           // 000000008234: D1FF00D0 074FA11F
	v_cndmask_b32_e64 v29, v208, v210, s[74:75]                // 00000000823C: D100001D 012BA5D0
	v_and_or_b32 v170, v29, v209, v28                          // 000000008244: D20100AA 0473A31D
	v_mov_b32_e32 v30, v182                                    // 00000000824C: 7E3C03B6
	v_mov_b32_e32 v31, v183                                    // 000000008250: 7E3E03B7
	v_cmp_u_f32_e64 s[74:75], v30, v30                         // 000000008254: D048004A 00023D1E
	v_bfe_u32 v208, v30, 16, 1                                 // 00000000825C: D1C800D0 0205211E
	v_add3_u32 v208, v30, v208, v211                           // 000000008264: D1FF00D0 074FA11E
	v_cndmask_b32_e64 v28, v208, v210, s[74:75]                // 00000000826C: D100001C 012BA5D0
	v_lshrrev_b32_e32 v28, 16, v28                             // 000000008274: 20383890
	v_cmp_u_f32_e64 s[74:75], v31, v31                         // 000000008278: D048004A 00023F1F
	v_bfe_u32 v208, v31, 16, 1                                 // 000000008280: D1C800D0 0205211F
	v_add3_u32 v208, v31, v208, v211                           // 000000008288: D1FF00D0 074FA11F
	v_cndmask_b32_e64 v29, v208, v210, s[74:75]                // 000000008290: D100001D 012BA5D0
	v_and_or_b32 v171, v29, v209, v28                          // 000000008298: D20100AB 0473A31D
	v_mov_b32_e32 v30, v184                                    // 0000000082A0: 7E3C03B8
	v_mov_b32_e32 v31, v185                                    // 0000000082A4: 7E3E03B9
	v_cmp_u_f32_e64 s[74:75], v30, v30                         // 0000000082A8: D048004A 00023D1E
	v_bfe_u32 v208, v30, 16, 1                                 // 0000000082B0: D1C800D0 0205211E
	v_add3_u32 v208, v30, v208, v211                           // 0000000082B8: D1FF00D0 074FA11E
	v_cndmask_b32_e64 v28, v208, v210, s[74:75]                // 0000000082C0: D100001C 012BA5D0
	v_lshrrev_b32_e32 v28, 16, v28                             // 0000000082C8: 20383890
	v_cmp_u_f32_e64 s[74:75], v31, v31                         // 0000000082CC: D048004A 00023F1F
	v_bfe_u32 v208, v31, 16, 1                                 // 0000000082D4: D1C800D0 0205211F
	v_add3_u32 v208, v31, v208, v211                           // 0000000082DC: D1FF00D0 074FA11F
	v_cndmask_b32_e64 v29, v208, v210, s[74:75]                // 0000000082E4: D100001D 012BA5D0
	v_and_or_b32 v172, v29, v209, v28                          // 0000000082EC: D20100AC 0473A31D
	v_mov_b32_e32 v30, v186                                    // 0000000082F4: 7E3C03BA
	v_mov_b32_e32 v31, v187                                    // 0000000082F8: 7E3E03BB
	v_cmp_u_f32_e64 s[74:75], v30, v30                         // 0000000082FC: D048004A 00023D1E
	v_bfe_u32 v208, v30, 16, 1                                 // 000000008304: D1C800D0 0205211E
	v_add3_u32 v208, v30, v208, v211                           // 00000000830C: D1FF00D0 074FA11E
	v_cndmask_b32_e64 v28, v208, v210, s[74:75]                // 000000008314: D100001C 012BA5D0
	v_lshrrev_b32_e32 v28, 16, v28                             // 00000000831C: 20383890
	v_cmp_u_f32_e64 s[74:75], v31, v31                         // 000000008320: D048004A 00023F1F
	v_bfe_u32 v208, v31, 16, 1                                 // 000000008328: D1C800D0 0205211F
	v_add3_u32 v208, v31, v208, v211                           // 000000008330: D1FF00D0 074FA11F
	v_cndmask_b32_e64 v29, v208, v210, s[74:75]                // 000000008338: D100001D 012BA5D0
	v_and_or_b32 v173, v29, v209, v28                          // 000000008340: D20100AD 0473A31D
	v_mov_b32_e32 v30, v188                                    // 000000008348: 7E3C03BC
	v_mov_b32_e32 v31, v189                                    // 00000000834C: 7E3E03BD
	v_cmp_u_f32_e64 s[74:75], v30, v30                         // 000000008350: D048004A 00023D1E
	v_bfe_u32 v208, v30, 16, 1                                 // 000000008358: D1C800D0 0205211E
	v_add3_u32 v208, v30, v208, v211                           // 000000008360: D1FF00D0 074FA11E
	v_cndmask_b32_e64 v28, v208, v210, s[74:75]                // 000000008368: D100001C 012BA5D0
	v_lshrrev_b32_e32 v28, 16, v28                             // 000000008370: 20383890
	v_cmp_u_f32_e64 s[74:75], v31, v31                         // 000000008374: D048004A 00023F1F
	v_bfe_u32 v208, v31, 16, 1                                 // 00000000837C: D1C800D0 0205211F
	v_add3_u32 v208, v31, v208, v211                           // 000000008384: D1FF00D0 074FA11F
	v_cndmask_b32_e64 v29, v208, v210, s[74:75]                // 00000000838C: D100001D 012BA5D0
	v_and_or_b32 v174, v29, v209, v28                          // 000000008394: D20100AE 0473A31D
	v_mov_b32_e32 v30, v190                                    // 00000000839C: 7E3C03BE
	v_mov_b32_e32 v31, v191                                    // 0000000083A0: 7E3E03BF
	v_cmp_u_f32_e64 s[74:75], v30, v30                         // 0000000083A4: D048004A 00023D1E
	v_bfe_u32 v208, v30, 16, 1                                 // 0000000083AC: D1C800D0 0205211E
	v_add3_u32 v208, v30, v208, v211                           // 0000000083B4: D1FF00D0 074FA11E
	v_cndmask_b32_e64 v28, v208, v210, s[74:75]                // 0000000083BC: D100001C 012BA5D0
	v_lshrrev_b32_e32 v28, 16, v28                             // 0000000083C4: 20383890
	v_cmp_u_f32_e64 s[74:75], v31, v31                         // 0000000083C8: D048004A 00023F1F
	v_bfe_u32 v208, v31, 16, 1                                 // 0000000083D0: D1C800D0 0205211F
	v_add3_u32 v208, v31, v208, v211                           // 0000000083D8: D1FF00D0 074FA11F
	v_cndmask_b32_e64 v29, v208, v210, s[74:75]                // 0000000083E0: D100001D 012BA5D0
	v_and_or_b32 v175, v29, v209, v28                          // 0000000083E8: D20100AF 0473A31D
	v_mov_b32_e32 v30, v192                                    // 0000000083F0: 7E3C03C0
	v_mov_b32_e32 v31, v193                                    // 0000000083F4: 7E3E03C1
	v_cmp_u_f32_e64 s[74:75], v30, v30                         // 0000000083F8: D048004A 00023D1E
	v_bfe_u32 v208, v30, 16, 1                                 // 000000008400: D1C800D0 0205211E
	v_add3_u32 v208, v30, v208, v211                           // 000000008408: D1FF00D0 074FA11E
	v_cndmask_b32_e64 v28, v208, v210, s[74:75]                // 000000008410: D100001C 012BA5D0
	v_lshrrev_b32_e32 v28, 16, v28                             // 000000008418: 20383890
	v_cmp_u_f32_e64 s[74:75], v31, v31                         // 00000000841C: D048004A 00023F1F
	v_bfe_u32 v208, v31, 16, 1                                 // 000000008424: D1C800D0 0205211F
	v_add3_u32 v208, v31, v208, v211                           // 00000000842C: D1FF00D0 074FA11F
	v_cndmask_b32_e64 v29, v208, v210, s[74:75]                // 000000008434: D100001D 012BA5D0
	v_and_or_b32 v176, v29, v209, v28                          // 00000000843C: D20100B0 0473A31D
	v_mov_b32_e32 v30, v194                                    // 000000008444: 7E3C03C2
	v_mov_b32_e32 v31, v195                                    // 000000008448: 7E3E03C3
	v_cmp_u_f32_e64 s[74:75], v30, v30                         // 00000000844C: D048004A 00023D1E
	v_bfe_u32 v208, v30, 16, 1                                 // 000000008454: D1C800D0 0205211E
	v_add3_u32 v208, v30, v208, v211                           // 00000000845C: D1FF00D0 074FA11E
	v_cndmask_b32_e64 v28, v208, v210, s[74:75]                // 000000008464: D100001C 012BA5D0
	v_lshrrev_b32_e32 v28, 16, v28                             // 00000000846C: 20383890
	v_cmp_u_f32_e64 s[74:75], v31, v31                         // 000000008470: D048004A 00023F1F
	v_bfe_u32 v208, v31, 16, 1                                 // 000000008478: D1C800D0 0205211F
	v_add3_u32 v208, v31, v208, v211                           // 000000008480: D1FF00D0 074FA11F
	v_cndmask_b32_e64 v29, v208, v210, s[74:75]                // 000000008488: D100001D 012BA5D0
	v_and_or_b32 v177, v29, v209, v28                          // 000000008490: D20100B1 0473A31D
	v_mov_b32_e32 v30, v196                                    // 000000008498: 7E3C03C4
	v_mov_b32_e32 v31, v197                                    // 00000000849C: 7E3E03C5
	v_cmp_u_f32_e64 s[74:75], v30, v30                         // 0000000084A0: D048004A 00023D1E
	v_bfe_u32 v208, v30, 16, 1                                 // 0000000084A8: D1C800D0 0205211E
	v_add3_u32 v208, v30, v208, v211                           // 0000000084B0: D1FF00D0 074FA11E
	v_cndmask_b32_e64 v28, v208, v210, s[74:75]                // 0000000084B8: D100001C 012BA5D0
	v_lshrrev_b32_e32 v28, 16, v28                             // 0000000084C0: 20383890
	v_cmp_u_f32_e64 s[74:75], v31, v31                         // 0000000084C4: D048004A 00023F1F
	v_bfe_u32 v208, v31, 16, 1                                 // 0000000084CC: D1C800D0 0205211F
	v_add3_u32 v208, v31, v208, v211                           // 0000000084D4: D1FF00D0 074FA11F
	v_cndmask_b32_e64 v29, v208, v210, s[74:75]                // 0000000084DC: D100001D 012BA5D0
	v_and_or_b32 v178, v29, v209, v28                          // 0000000084E4: D20100B2 0473A31D
	v_mov_b32_e32 v30, v198                                    // 0000000084EC: 7E3C03C6
	v_mov_b32_e32 v31, v199                                    // 0000000084F0: 7E3E03C7
	v_cmp_u_f32_e64 s[74:75], v30, v30                         // 0000000084F4: D048004A 00023D1E
	v_bfe_u32 v208, v30, 16, 1                                 // 0000000084FC: D1C800D0 0205211E
	v_add3_u32 v208, v30, v208, v211                           // 000000008504: D1FF00D0 074FA11E
	v_cndmask_b32_e64 v28, v208, v210, s[74:75]                // 00000000850C: D100001C 012BA5D0
	v_lshrrev_b32_e32 v28, 16, v28                             // 000000008514: 20383890
	v_cmp_u_f32_e64 s[74:75], v31, v31                         // 000000008518: D048004A 00023F1F
	v_bfe_u32 v208, v31, 16, 1                                 // 000000008520: D1C800D0 0205211F
	v_add3_u32 v208, v31, v208, v211                           // 000000008528: D1FF00D0 074FA11F
	v_cndmask_b32_e64 v29, v208, v210, s[74:75]                // 000000008530: D100001D 012BA5D0
	v_and_or_b32 v179, v29, v209, v28                          // 000000008538: D20100B3 0473A31D
	v_mov_b32_e32 v30, v200                                    // 000000008540: 7E3C03C8
	v_mov_b32_e32 v31, v201                                    // 000000008544: 7E3E03C9
	v_cmp_u_f32_e64 s[74:75], v30, v30                         // 000000008548: D048004A 00023D1E
	v_bfe_u32 v208, v30, 16, 1                                 // 000000008550: D1C800D0 0205211E
	v_add3_u32 v208, v30, v208, v211                           // 000000008558: D1FF00D0 074FA11E
	v_cndmask_b32_e64 v28, v208, v210, s[74:75]                // 000000008560: D100001C 012BA5D0
	v_lshrrev_b32_e32 v28, 16, v28                             // 000000008568: 20383890
	v_cmp_u_f32_e64 s[74:75], v31, v31                         // 00000000856C: D048004A 00023F1F
	v_bfe_u32 v208, v31, 16, 1                                 // 000000008574: D1C800D0 0205211F
	v_add3_u32 v208, v31, v208, v211                           // 00000000857C: D1FF00D0 074FA11F
	v_cndmask_b32_e64 v29, v208, v210, s[74:75]                // 000000008584: D100001D 012BA5D0
	v_and_or_b32 v180, v29, v209, v28                          // 00000000858C: D20100B4 0473A31D
	v_mov_b32_e32 v30, v202                                    // 000000008594: 7E3C03CA
	v_mov_b32_e32 v31, v203                                    // 000000008598: 7E3E03CB
	v_cmp_u_f32_e64 s[74:75], v30, v30                         // 00000000859C: D048004A 00023D1E
	v_bfe_u32 v208, v30, 16, 1                                 // 0000000085A4: D1C800D0 0205211E
	v_add3_u32 v208, v30, v208, v211                           // 0000000085AC: D1FF00D0 074FA11E
	v_cndmask_b32_e64 v28, v208, v210, s[74:75]                // 0000000085B4: D100001C 012BA5D0
	v_lshrrev_b32_e32 v28, 16, v28                             // 0000000085BC: 20383890
	v_cmp_u_f32_e64 s[74:75], v31, v31                         // 0000000085C0: D048004A 00023F1F
	v_bfe_u32 v208, v31, 16, 1                                 // 0000000085C8: D1C800D0 0205211F
	v_add3_u32 v208, v31, v208, v211                           // 0000000085D0: D1FF00D0 074FA11F
	v_cndmask_b32_e64 v29, v208, v210, s[74:75]                // 0000000085D8: D100001D 012BA5D0
	v_and_or_b32 v181, v29, v209, v28                          // 0000000085E0: D20100B5 0473A31D
	v_mov_b32_e32 v30, v204                                    // 0000000085E8: 7E3C03CC
	v_mov_b32_e32 v31, v205                                    // 0000000085EC: 7E3E03CD
	v_cmp_u_f32_e64 s[74:75], v30, v30                         // 0000000085F0: D048004A 00023D1E
	v_bfe_u32 v208, v30, 16, 1                                 // 0000000085F8: D1C800D0 0205211E
	v_add3_u32 v208, v30, v208, v211                           // 000000008600: D1FF00D0 074FA11E
	v_cndmask_b32_e64 v28, v208, v210, s[74:75]                // 000000008608: D100001C 012BA5D0
	v_lshrrev_b32_e32 v28, 16, v28                             // 000000008610: 20383890
	v_cmp_u_f32_e64 s[74:75], v31, v31                         // 000000008614: D048004A 00023F1F
	v_bfe_u32 v208, v31, 16, 1                                 // 00000000861C: D1C800D0 0205211F
	v_add3_u32 v208, v31, v208, v211                           // 000000008624: D1FF00D0 074FA11F
	v_cndmask_b32_e64 v29, v208, v210, s[74:75]                // 00000000862C: D100001D 012BA5D0
	v_and_or_b32 v182, v29, v209, v28                          // 000000008634: D20100B6 0473A31D
	v_mov_b32_e32 v30, v206                                    // 00000000863C: 7E3C03CE
	v_mov_b32_e32 v31, v207                                    // 000000008640: 7E3E03CF
	v_cmp_u_f32_e64 s[74:75], v30, v30                         // 000000008644: D048004A 00023D1E
	v_bfe_u32 v208, v30, 16, 1                                 // 00000000864C: D1C800D0 0205211E
	v_add3_u32 v208, v30, v208, v211                           // 000000008654: D1FF00D0 074FA11E
	v_cndmask_b32_e64 v28, v208, v210, s[74:75]                // 00000000865C: D100001C 012BA5D0
	v_lshrrev_b32_e32 v28, 16, v28                             // 000000008664: 20383890
	v_cmp_u_f32_e64 s[74:75], v31, v31                         // 000000008668: D048004A 00023F1F
	v_bfe_u32 v208, v31, 16, 1                                 // 000000008670: D1C800D0 0205211F
	v_add3_u32 v208, v31, v208, v211                           // 000000008678: D1FF00D0 074FA11F
	v_cndmask_b32_e64 v29, v208, v210, s[74:75]                // 000000008680: D100001D 012BA5D0
	v_and_or_b32 v183, v29, v209, v28                          // 000000008688: D20100B7 0473A31D
	ds_write_b64 v25, v[160:161]                               // 000000008690: D89A0000 0000A019
	ds_write_b64 v25, v[162:163] offset:544                    // 000000008698: D89A0220 0000A219
	ds_write_b64 v25, v[164:165] offset:1088                   // 0000000086A0: D89A0440 0000A419
	ds_write_b64 v25, v[166:167] offset:1632                   // 0000000086A8: D89A0660 0000A619
	ds_write_b64 v25, v[168:169] offset:2176                   // 0000000086B0: D89A0880 0000A819
	ds_write_b64 v25, v[170:171] offset:2720                   // 0000000086B8: D89A0AA0 0000AA19
	ds_write_b64 v25, v[172:173] offset:3264                   // 0000000086C0: D89A0CC0 0000AC19
	ds_write_b64 v25, v[174:175] offset:3808                   // 0000000086C8: D89A0EE0 0000AE19
	ds_write_b64 v25, v[176:177] offset:4352                   // 0000000086D0: D89A1100 0000B019
	ds_write_b64 v25, v[178:179] offset:4896                   // 0000000086D8: D89A1320 0000B219
	ds_write_b64 v25, v[180:181] offset:5440                   // 0000000086E0: D89A1540 0000B419
	ds_write_b64 v25, v[182:183] offset:5984                   // 0000000086E8: D89A1760 0000B619
	s_waitcnt lgkmcnt(0)                                       // 0000000086F0: BF8CC07F
	s_barrier                                                  // 0000000086F4: BF8A0000
	ds_read_b64 v[160:161], v24                                // 0000000086F8: D8EC0000 A0000018
	ds_read_b64 v[162:163], v24 offset:128                     // 000000008700: D8EC0080 A2000018
	ds_read_b64 v[164:165], v24 offset:64                      // 000000008708: D8EC0040 A4000018
	ds_read_b64 v[166:167], v24 offset:192                     // 000000008710: D8EC00C0 A6000018
	ds_read_b64 v[168:169], v24 offset:2176                    // 000000008718: D8EC0880 A8000018
	ds_read_b64 v[170:171], v24 offset:2304                    // 000000008720: D8EC0900 AA000018
	ds_read_b64 v[172:173], v24 offset:2240                    // 000000008728: D8EC08C0 AC000018
	ds_read_b64 v[174:175], v24 offset:2368                    // 000000008730: D8EC0940 AE000018
	ds_read_b64 v[176:177], v24 offset:4352                    // 000000008738: D8EC1100 B0000018
	ds_read_b64 v[178:179], v24 offset:4480                    // 000000008740: D8EC1180 B2000018
	ds_read_b64 v[180:181], v24 offset:4416                    // 000000008748: D8EC1140 B4000018
	ds_read_b64 v[182:183], v24 offset:4544                    // 000000008750: D8EC11C0 B6000018
	s_waitcnt lgkmcnt(0)                                       // 000000008758: BF8CC07F
	buffer_store_dwordx4 v[160:163], v5, s[40:43], 0 idxen     // 00000000875C: E07C2000 800AA005
	v_add_u32_e32 v5, 32, v5                                   // 000000008764: 680A0AA0
	buffer_store_dwordx4 v[164:167], v6, s[40:43], 0 idxen     // 000000008768: E07C2000 800AA406
	v_add_u32_e32 v6, 32, v6                                   // 000000008770: 680C0CA0
	buffer_store_dwordx4 v[168:171], v5, s[40:43], 0 idxen     // 000000008774: E07C2000 800AA805
	v_add_u32_e32 v5, 32, v5                                   // 00000000877C: 680A0AA0
	buffer_store_dwordx4 v[172:175], v6, s[40:43], 0 idxen     // 000000008780: E07C2000 800AAC06
	v_add_u32_e32 v6, 32, v6                                   // 000000008788: 680C0CA0
	s_mov_b64 exec, s[86:87]                                   // 00000000878C: BEFE0156
	buffer_store_dwordx4 v[176:179], v5, s[40:43], 0 idxen     // 000000008790: E07C2000 800AB005
	s_mov_b64 exec, s[84:85]                                   // 000000008798: BEFE0154
	v_add_u32_e32 v5, 32, v5                                   // 00000000879C: 680A0AA0
	s_mov_b64 exec, s[86:87]                                   // 0000000087A0: BEFE0156
	buffer_store_dwordx4 v[180:183], v6, s[40:43], 0 idxen     // 0000000087A4: E07C2000 800AB406
	s_mov_b64 exec, s[84:85]                                   // 0000000087AC: BEFE0154
	v_add_u32_e32 v6, 32, v6                                   // 0000000087B0: 680C0CA0

00000000000087b4 <label_126D>:
	s_waitcnt vmcnt(0) expcnt(0) lgkmcnt(0)                    // 0000000087B4: BF8C0000
	s_endpgm                                                   // 0000000087B8: BF810000
